;; amdgpu-corpus repo=ROCm/rocFFT kind=compiled arch=gfx1030 opt=O3
	.text
	.amdgcn_target "amdgcn-amd-amdhsa--gfx1030"
	.amdhsa_code_object_version 6
	.protected	fft_rtc_fwd_len208_factors_13_16_wgs_144_tpt_16_half_op_CI_CI_sbcc_twdbase6_3step_dirReg_intrinsicReadWrite ; -- Begin function fft_rtc_fwd_len208_factors_13_16_wgs_144_tpt_16_half_op_CI_CI_sbcc_twdbase6_3step_dirReg_intrinsicReadWrite
	.globl	fft_rtc_fwd_len208_factors_13_16_wgs_144_tpt_16_half_op_CI_CI_sbcc_twdbase6_3step_dirReg_intrinsicReadWrite
	.p2align	8
	.type	fft_rtc_fwd_len208_factors_13_16_wgs_144_tpt_16_half_op_CI_CI_sbcc_twdbase6_3step_dirReg_intrinsicReadWrite,@function
fft_rtc_fwd_len208_factors_13_16_wgs_144_tpt_16_half_op_CI_CI_sbcc_twdbase6_3step_dirReg_intrinsicReadWrite: ; @fft_rtc_fwd_len208_factors_13_16_wgs_144_tpt_16_half_op_CI_CI_sbcc_twdbase6_3step_dirReg_intrinsicReadWrite
; %bb.0:
	s_clause 0x3
	s_load_dwordx2 s[28:29], s[4:5], 0x0
	s_load_dwordx8 s[8:15], s[4:5], 0x8
	s_load_dwordx4 s[16:19], s[4:5], 0x60
	s_load_dwordx2 s[4:5], s[4:5], 0x28
	s_mov_b32 s1, exec_lo
	v_cmpx_gt_u32_e32 0xc0, v0
	s_cbranch_execz .LBB0_3
; %bb.1:
	v_lshlrev_b32_e32 v5, 2, v0
	v_add_co_u32 v1, s0, 0xffffff70, v0
	v_add_co_ci_u32_e64 v2, null, 0, -1, s0
	s_waitcnt lgkmcnt(0)
	v_add_co_u32 v3, s0, s8, v5
	v_add_co_ci_u32_e64 v4, null, s9, 0, s0
	v_add3_u32 v5, v5, 0, 0x1d40
	s_mov_b32 s2, 0
	.p2align	6
.LBB0_2:                                ; =>This Inner Loop Header: Depth=1
	global_load_dword v6, v[3:4], off
	v_add_co_u32 v1, vcc_lo, 0x90, v1
	v_add_co_ci_u32_e32 v2, vcc_lo, 0, v2, vcc_lo
	v_add_co_u32 v3, vcc_lo, 0x240, v3
	v_add_co_ci_u32_e32 v4, vcc_lo, 0, v4, vcc_lo
	v_cmp_lt_u64_e64 s0, 47, v[1:2]
	s_or_b32 s2, s0, s2
	s_waitcnt vmcnt(0)
	ds_write_b32 v5, v6
	v_add_nc_u32_e32 v5, 0x240, v5
	s_andn2_b32 exec_lo, exec_lo, s2
	s_cbranch_execnz .LBB0_2
.LBB0_3:
	s_or_b32 exec_lo, exec_lo, s1
	s_waitcnt lgkmcnt(0)
	s_load_dwordx2 s[0:1], s[12:13], 0x8
	s_waitcnt lgkmcnt(0)
	s_add_u32 s2, s0, -1
	s_addc_u32 s3, s1, -1
	s_add_u32 s7, 0, 0x71c4fc00
	s_addc_u32 s8, 0, 0x7c
	s_mul_hi_u32 s20, s7, -9
	s_add_i32 s8, s8, 0x1c71c6a0
	s_sub_i32 s20, s20, s7
	s_mul_i32 s22, s8, -9
	s_mul_i32 s9, s7, -9
	s_add_i32 s20, s20, s22
	s_mul_hi_u32 s21, s7, s9
	s_mul_i32 s24, s7, s20
	s_mul_hi_u32 s22, s7, s20
	s_mul_hi_u32 s23, s8, s9
	s_mul_i32 s9, s8, s9
	s_add_u32 s21, s21, s24
	s_addc_u32 s22, 0, s22
	s_mul_hi_u32 s25, s8, s20
	s_add_u32 s9, s21, s9
	s_mul_i32 s20, s8, s20
	s_addc_u32 s9, s22, s23
	s_addc_u32 s21, s25, 0
	s_add_u32 s9, s9, s20
	v_add_co_u32 v1, s7, s7, s9
	s_addc_u32 s9, 0, s21
	s_cmp_lg_u32 s7, 0
	s_addc_u32 s7, s8, s9
	v_readfirstlane_b32 s8, v1
	s_mul_i32 s20, s2, s7
	s_mul_hi_u32 s9, s2, s7
	s_mul_hi_u32 s21, s3, s7
	s_mul_i32 s7, s3, s7
	s_mul_hi_u32 s22, s2, s8
	s_mul_hi_u32 s23, s3, s8
	s_mul_i32 s8, s3, s8
	s_add_u32 s20, s22, s20
	s_addc_u32 s9, 0, s9
	s_add_u32 s8, s20, s8
	s_addc_u32 s8, s9, s23
	s_addc_u32 s9, s21, 0
	s_add_u32 s8, s8, s7
	s_addc_u32 s9, 0, s9
	s_mul_i32 s20, s8, 9
	s_add_u32 s7, s8, 1
	v_sub_co_u32 v1, s2, s2, s20
	s_mul_hi_u32 s20, s8, 9
	s_addc_u32 s21, s9, 0
	s_mul_i32 s22, s9, 9
	v_sub_co_u32 v2, s23, v1, 9
	s_add_u32 s24, s8, 2
	s_addc_u32 s25, s9, 0
	s_add_i32 s20, s20, s22
	s_cmp_lg_u32 s2, 0
	v_readfirstlane_b32 s2, v2
	s_subb_u32 s3, s3, s20
	s_cmp_lg_u32 s23, 0
	s_subb_u32 s20, s3, 0
	s_cmp_gt_u32 s2, 8
	s_cselect_b32 s2, -1, 0
	s_cmp_eq_u32 s20, 0
	v_readfirstlane_b32 s20, v1
	s_cselect_b32 s2, s2, -1
	s_cmp_lg_u32 s2, 0
	s_cselect_b32 s2, s24, s7
	s_cselect_b32 s21, s25, s21
	s_cmp_gt_u32 s20, 8
	s_cselect_b32 s7, -1, 0
	s_cmp_eq_u32 s3, 0
	s_cselect_b32 s3, s7, -1
	s_mov_b32 s7, 0
	s_cmp_lg_u32 s3, 0
	s_cselect_b32 s2, s2, s8
	s_cselect_b32 s3, s21, s9
	s_add_u32 s8, s2, 1
	s_addc_u32 s9, s3, 0
	v_cmp_lt_u64_e64 s2, s[6:7], s[8:9]
	s_and_b32 vcc_lo, exec_lo, s2
	s_mov_b64 s[2:3], 0
	s_cbranch_vccnz .LBB0_5
; %bb.4:
	v_cvt_f32_u32_e32 v1, s8
	s_sub_i32 s3, 0, s8
	v_rcp_iflag_f32_e32 v1, v1
	v_mul_f32_e32 v1, 0x4f7ffffe, v1
	v_cvt_u32_f32_e32 v1, v1
	v_readfirstlane_b32 s2, v1
	s_mul_i32 s3, s3, s2
	s_mul_hi_u32 s3, s2, s3
	s_add_i32 s2, s2, s3
	s_mul_hi_u32 s2, s6, s2
	s_mul_i32 s3, s2, s8
	s_add_i32 s20, s2, 1
	s_sub_i32 s3, s6, s3
	s_sub_i32 s21, s3, s8
	s_cmp_ge_u32 s3, s8
	s_cselect_b32 s2, s20, s2
	s_cselect_b32 s3, s21, s3
	s_add_i32 s20, s2, 1
	s_cmp_ge_u32 s3, s8
	s_mov_b32 s3, s7
	s_cselect_b32 s2, s20, s2
.LBB0_5:
	s_load_dwordx4 s[24:27], s[14:15], 0x0
	s_load_dwordx4 s[20:23], s[4:5], 0x0
	s_waitcnt lgkmcnt(0)
	s_mul_i32 s21, s2, s9
	s_mul_hi_u32 s25, s2, s8
	s_mul_i32 s30, s2, s8
	s_add_i32 s25, s25, s21
	s_sub_u32 s33, s6, s30
	s_subb_u32 s21, 0, s25
	v_cmp_lt_u64_e64 s31, s[10:11], 3
	s_mul_hi_u32 s25, s33, 9
	s_mul_i32 s21, s21, 9
	s_mul_i32 s33, s33, 9
	s_add_i32 s25, s25, s21
	s_and_b32 vcc_lo, exec_lo, s31
	s_mul_i32 s21, s26, s25
	s_mul_hi_u32 s30, s26, s33
	s_mul_i32 s34, s22, s25
	s_mul_hi_u32 s35, s22, s33
	s_mul_i32 s31, s27, s33
	s_mul_i32 s36, s23, s33
	s_add_i32 s21, s30, s21
	s_add_i32 s30, s35, s34
	s_mul_i32 s27, s26, s33
	s_add_i32 s23, s21, s31
	s_add_i32 s44, s30, s36
	s_mul_i32 s21, s22, s33
	s_cbranch_vccnz .LBB0_15
; %bb.6:
	s_add_u32 s30, s4, 16
	s_addc_u32 s31, s5, 0
	s_add_u32 s34, s14, 16
	s_addc_u32 s35, s15, 0
	;; [unrolled: 2-line block ×3, first 2 shown]
	s_mov_b64 s[36:37], 2
	s_mov_b32 s38, 0
.LBB0_7:                                ; =>This Inner Loop Header: Depth=1
	s_load_dwordx2 s[40:41], s[12:13], 0x0
	s_waitcnt lgkmcnt(0)
	s_or_b64 s[42:43], s[2:3], s[40:41]
	s_mov_b32 s39, s43
                                        ; implicit-def: $sgpr42_sgpr43
	s_cmp_lg_u64 s[38:39], 0
	s_mov_b32 s39, -1
	s_cbranch_scc0 .LBB0_9
; %bb.8:                                ;   in Loop: Header=BB0_7 Depth=1
	v_cvt_f32_u32_e32 v1, s40
	v_cvt_f32_u32_e32 v2, s41
	s_sub_u32 s43, 0, s40
	s_subb_u32 s45, 0, s41
	v_fmac_f32_e32 v1, 0x4f800000, v2
	v_rcp_f32_e32 v1, v1
	v_mul_f32_e32 v1, 0x5f7ffffc, v1
	v_mul_f32_e32 v2, 0x2f800000, v1
	v_trunc_f32_e32 v2, v2
	v_fmac_f32_e32 v1, 0xcf800000, v2
	v_cvt_u32_f32_e32 v2, v2
	v_cvt_u32_f32_e32 v1, v1
	v_readfirstlane_b32 s39, v2
	v_readfirstlane_b32 s42, v1
	s_mul_i32 s46, s43, s39
	s_mul_hi_u32 s48, s43, s42
	s_mul_i32 s47, s45, s42
	s_add_i32 s46, s48, s46
	s_mul_i32 s49, s43, s42
	s_add_i32 s46, s46, s47
	s_mul_hi_u32 s48, s42, s49
	s_mul_hi_u32 s50, s39, s49
	s_mul_i32 s47, s39, s49
	s_mul_hi_u32 s49, s42, s46
	s_mul_i32 s42, s42, s46
	s_mul_hi_u32 s51, s39, s46
	s_add_u32 s42, s48, s42
	s_addc_u32 s48, 0, s49
	s_add_u32 s42, s42, s47
	s_mul_i32 s46, s39, s46
	s_addc_u32 s42, s48, s50
	s_addc_u32 s47, s51, 0
	s_add_u32 s42, s42, s46
	s_addc_u32 s46, 0, s47
	v_add_co_u32 v1, s42, v1, s42
	s_cmp_lg_u32 s42, 0
	s_addc_u32 s39, s39, s46
	v_readfirstlane_b32 s42, v1
	s_mul_i32 s46, s43, s39
	s_mul_hi_u32 s47, s43, s42
	s_mul_i32 s45, s45, s42
	s_add_i32 s46, s47, s46
	s_mul_i32 s43, s43, s42
	s_add_i32 s46, s46, s45
	s_mul_hi_u32 s47, s39, s43
	s_mul_i32 s48, s39, s43
	s_mul_hi_u32 s43, s42, s43
	s_mul_hi_u32 s49, s42, s46
	s_mul_i32 s42, s42, s46
	s_mul_hi_u32 s45, s39, s46
	s_add_u32 s42, s43, s42
	s_addc_u32 s43, 0, s49
	s_add_u32 s42, s42, s48
	s_mul_i32 s46, s39, s46
	s_addc_u32 s42, s43, s47
	s_addc_u32 s43, s45, 0
	s_add_u32 s42, s42, s46
	s_addc_u32 s43, 0, s43
	v_add_co_u32 v1, s42, v1, s42
	s_cmp_lg_u32 s42, 0
	s_addc_u32 s39, s39, s43
	v_readfirstlane_b32 s42, v1
	s_mul_i32 s45, s2, s39
	s_mul_hi_u32 s43, s2, s39
	s_mul_hi_u32 s46, s3, s39
	s_mul_i32 s39, s3, s39
	s_mul_hi_u32 s47, s2, s42
	s_mul_hi_u32 s48, s3, s42
	s_mul_i32 s42, s3, s42
	s_add_u32 s45, s47, s45
	s_addc_u32 s43, 0, s43
	s_add_u32 s42, s45, s42
	s_addc_u32 s42, s43, s48
	s_addc_u32 s43, s46, 0
	s_add_u32 s42, s42, s39
	s_addc_u32 s43, 0, s43
	s_mul_hi_u32 s39, s40, s42
	s_mul_i32 s46, s40, s43
	s_mul_i32 s47, s40, s42
	s_add_i32 s39, s39, s46
	v_sub_co_u32 v1, s46, s2, s47
	s_mul_i32 s45, s41, s42
	s_add_i32 s39, s39, s45
	v_sub_co_u32 v2, s47, v1, s40
	s_sub_i32 s45, s3, s39
	s_cmp_lg_u32 s46, 0
	s_subb_u32 s45, s45, s41
	s_cmp_lg_u32 s47, 0
	v_readfirstlane_b32 s47, v2
	s_subb_u32 s45, s45, 0
	s_cmp_ge_u32 s45, s41
	s_cselect_b32 s48, -1, 0
	s_cmp_ge_u32 s47, s40
	s_cselect_b32 s47, -1, 0
	s_cmp_eq_u32 s45, s41
	s_cselect_b32 s45, s47, s48
	s_add_u32 s47, s42, 1
	s_addc_u32 s48, s43, 0
	s_add_u32 s49, s42, 2
	s_addc_u32 s50, s43, 0
	s_cmp_lg_u32 s45, 0
	s_cselect_b32 s45, s49, s47
	s_cselect_b32 s47, s50, s48
	s_cmp_lg_u32 s46, 0
	v_readfirstlane_b32 s46, v1
	s_subb_u32 s39, s3, s39
	s_cmp_ge_u32 s39, s41
	s_cselect_b32 s48, -1, 0
	s_cmp_ge_u32 s46, s40
	s_cselect_b32 s46, -1, 0
	s_cmp_eq_u32 s39, s41
	s_cselect_b32 s39, s46, s48
	s_cmp_lg_u32 s39, 0
	s_mov_b32 s39, 0
	s_cselect_b32 s43, s47, s43
	s_cselect_b32 s42, s45, s42
.LBB0_9:                                ;   in Loop: Header=BB0_7 Depth=1
	s_andn2_b32 vcc_lo, exec_lo, s39
	s_cbranch_vccnz .LBB0_11
; %bb.10:                               ;   in Loop: Header=BB0_7 Depth=1
	v_cvt_f32_u32_e32 v1, s40
	s_sub_i32 s42, 0, s40
	v_rcp_iflag_f32_e32 v1, v1
	v_mul_f32_e32 v1, 0x4f7ffffe, v1
	v_cvt_u32_f32_e32 v1, v1
	v_readfirstlane_b32 s39, v1
	s_mul_i32 s42, s42, s39
	s_mul_hi_u32 s42, s39, s42
	s_add_i32 s39, s39, s42
	s_mul_hi_u32 s39, s2, s39
	s_mul_i32 s42, s39, s40
	s_add_i32 s43, s39, 1
	s_sub_i32 s42, s2, s42
	s_sub_i32 s45, s42, s40
	s_cmp_ge_u32 s42, s40
	s_cselect_b32 s39, s43, s39
	s_cselect_b32 s42, s45, s42
	s_add_i32 s43, s39, 1
	s_cmp_ge_u32 s42, s40
	s_cselect_b32 s42, s43, s39
	s_mov_b32 s43, s38
.LBB0_11:                               ;   in Loop: Header=BB0_7 Depth=1
	s_load_dwordx2 s[46:47], s[34:35], 0x0
	s_load_dwordx2 s[48:49], s[30:31], 0x0
	s_mul_i32 s9, s40, s9
	s_mul_hi_u32 s39, s40, s8
	s_mul_i32 s45, s41, s8
	s_mul_i32 s41, s42, s41
	s_mul_hi_u32 s50, s42, s40
	s_mul_i32 s51, s43, s40
	s_add_i32 s9, s39, s9
	s_add_i32 s39, s50, s41
	s_mul_i32 s52, s42, s40
	s_add_i32 s9, s9, s45
	s_add_i32 s39, s39, s51
	s_sub_u32 s2, s2, s52
	s_subb_u32 s3, s3, s39
	s_mul_i32 s8, s40, s8
	s_waitcnt lgkmcnt(0)
	s_mul_i32 s39, s46, s3
	s_mul_hi_u32 s41, s46, s2
	s_mul_i32 s45, s47, s2
	s_add_i32 s39, s41, s39
	s_mul_i32 s46, s46, s2
	s_mul_i32 s3, s48, s3
	s_mul_hi_u32 s41, s48, s2
	s_add_i32 s39, s39, s45
	s_add_u32 s27, s46, s27
	s_addc_u32 s23, s39, s23
	s_add_i32 s3, s41, s3
	s_mul_i32 s39, s49, s2
	s_mul_i32 s2, s48, s2
	s_add_i32 s3, s3, s39
	s_add_u32 s21, s2, s21
	s_addc_u32 s44, s3, s44
	s_add_u32 s36, s36, 1
	s_addc_u32 s37, s37, 0
	s_add_u32 s30, s30, 8
	v_cmp_ge_u64_e64 s2, s[36:37], s[10:11]
	s_addc_u32 s31, s31, 0
	s_add_u32 s34, s34, 8
	s_addc_u32 s35, s35, 0
	s_add_u32 s12, s12, 8
	s_addc_u32 s13, s13, 0
	s_and_b32 vcc_lo, exec_lo, s2
	s_cbranch_vccnz .LBB0_13
; %bb.12:                               ;   in Loop: Header=BB0_7 Depth=1
	s_mov_b64 s[2:3], s[42:43]
	s_branch .LBB0_7
.LBB0_13:
	v_cmp_lt_u64_e64 s2, s[6:7], s[8:9]
	s_and_b32 vcc_lo, exec_lo, s2
	s_mov_b64 s[2:3], 0
	s_cbranch_vccnz .LBB0_15
; %bb.14:
	v_cvt_f32_u32_e32 v1, s8
	s_sub_i32 s3, 0, s8
	v_rcp_iflag_f32_e32 v1, v1
	v_mul_f32_e32 v1, 0x4f7ffffe, v1
	v_cvt_u32_f32_e32 v1, v1
	v_readfirstlane_b32 s2, v1
	s_mul_i32 s3, s3, s2
	s_mul_hi_u32 s3, s2, s3
	s_add_i32 s2, s2, s3
	s_mul_hi_u32 s2, s6, s2
	s_mul_i32 s3, s2, s8
	s_sub_i32 s3, s6, s3
	s_add_i32 s6, s2, 1
	s_sub_i32 s7, s3, s8
	s_cmp_ge_u32 s3, s8
	s_cselect_b32 s2, s6, s2
	s_cselect_b32 s3, s7, s3
	s_add_i32 s6, s2, 1
	s_cmp_ge_u32 s3, s8
	s_cselect_b32 s2, s6, s2
.LBB0_15:
	s_lshl_b64 s[6:7], s[10:11], 3
	v_mul_hi_u32 v19, 0x1c71c71d, v0
	s_add_u32 s8, s14, s6
	s_addc_u32 s9, s15, s7
	v_mov_b32_e32 v32, 0xbbf1
	s_load_dword s3, s[8:9], 0x0
	v_mov_b32_e32 v47, 0x394e
	v_mul_u32_u24_e32 v1, 9, v19
	v_mul_lo_u32 v2, s24, v19
	v_or_b32_e32 v8, 0x80, v19
	v_add_nc_u32_e32 v10, 0x90, v19
	v_sub_nc_u32_e32 v18, v0, v1
	v_mul_lo_u32 v8, s24, v8
	v_mul_lo_u32 v10, s24, v10
	;; [unrolled: 1-line block ×3, first 2 shown]
	s_waitcnt lgkmcnt(0)
	s_mul_i32 s3, s3, s2
	v_add_lshl_u32 v2, v1, v2, 2
	s_add_i32 s10, s3, s27
	v_add_co_u32 v3, s3, s33, v18
	v_add_co_ci_u32_e64 v4, null, s25, 0, s3
	s_add_u32 s4, s4, s6
	s_addc_u32 s5, s5, s7
	s_mov_b32 s7, 0x31014000
	v_cmp_gt_u64_e32 vcc_lo, s[0:1], v[3:4]
	v_add_nc_u32_e32 v4, 0x70, v19
	s_load_dwordx2 s[8:9], s[4:5], 0x0
	s_add_u32 s4, s33, 9
	s_addc_u32 s5, s25, 0
	s_mov_b32 s6, -2
	v_mul_lo_u32 v4, s24, v4
	v_cmp_le_u64_e64 s3, s[4:5], s[0:1]
	s_lshl_b32 s1, s10, 2
	s_mov_b32 s4, s16
	s_mov_b32 s5, s17
	v_add_lshl_u32 v8, v1, v8, 2
	v_add_lshl_u32 v10, v1, v10, 2
	s_or_b32 s0, s3, vcc_lo
	v_add_lshl_u32 v4, v1, v4, 2
	v_cndmask_b32_e64 v2, -1, v2, s0
	v_cndmask_b32_e64 v8, -1, v8, s0
	;; [unrolled: 1-line block ×4, first 2 shown]
	s_clause 0x2
	buffer_load_dword v5, v2, s[4:7], s1 offen
	buffer_load_dword v8, v8, s[4:7], s1 offen
	;; [unrolled: 1-line block ×3, first 2 shown]
	v_or_b32_e32 v10, 0xa0, v19
	buffer_load_dword v4, v4, s[4:7], s1 offen
	v_add_nc_u32_e32 v2, 16, v19
	v_mul_lo_u32 v10, s24, v10
	v_mul_lo_u32 v2, s24, v2
	v_add_lshl_u32 v10, v1, v10, 2
	v_add_lshl_u32 v2, v1, v2, 2
	v_cndmask_b32_e64 v10, -1, v10, s0
	v_cndmask_b32_e64 v2, -1, v2, s0
	buffer_load_dword v21, v10, s[4:7], s1 offen
	v_add_nc_u32_e32 v10, 0xb0, v19
	buffer_load_dword v6, v2, s[4:7], s1 offen
	v_or_b32_e32 v2, 32, v19
	v_mul_lo_u32 v10, s24, v10
	v_mul_lo_u32 v2, s24, v2
	v_add_lshl_u32 v10, v1, v10, 2
	v_add_lshl_u32 v2, v1, v2, 2
	v_cndmask_b32_e64 v10, -1, v10, s0
	v_cndmask_b32_e64 v2, -1, v2, s0
	buffer_load_dword v15, v10, s[4:7], s1 offen
	v_or_b32_e32 v10, 0xc0, v19
	buffer_load_dword v9, v2, s[4:7], s1 offen
	v_add_nc_u32_e32 v2, 48, v19
	v_mul_lo_u32 v10, s24, v10
	v_mul_lo_u32 v2, s24, v2
	v_add_lshl_u32 v2, v1, v2, 2
	v_cndmask_b32_e64 v2, -1, v2, s0
	buffer_load_dword v17, v2, s[4:7], s1 offen
	v_or_b32_e32 v2, 64, v19
	v_mul_lo_u32 v2, s24, v2
	v_add_lshl_u32 v2, v1, v2, 2
	v_cndmask_b32_e64 v2, -1, v2, s0
	buffer_load_dword v12, v2, s[4:7], s1 offen
	v_add_nc_u32_e32 v2, 0x50, v19
	v_mul_lo_u32 v2, s24, v2
	v_add_lshl_u32 v2, v1, v2, 2
	v_cndmask_b32_e64 v2, -1, v2, s0
	buffer_load_dword v7, v2, s[4:7], s1 offen
	v_or_b32_e32 v2, 0x60, v19
	v_mul_lo_u32 v2, s24, v2
	v_add_lshl_u32 v2, v1, v2, 2
	v_add_lshl_u32 v1, v1, v10, 2
	v_cndmask_b32_e64 v2, -1, v2, s0
	v_cndmask_b32_e64 v1, -1, v1, s0
	s_clause 0x1
	buffer_load_dword v2, v2, s[4:7], s1 offen
	buffer_load_dword v10, v1, s[4:7], s1 offen
	s_mov_b32 s1, exec_lo
	s_waitcnt vmcnt(7)
	v_pk_add_f16 v1, v5, v6
	s_waitcnt vmcnt(5)
	v_pk_add_f16 v1, v1, v9
	v_pk_add_f16 v45, v9, v15 neg_lo:[0,1] neg_hi:[0,1]
	s_waitcnt vmcnt(4)
	v_pk_add_f16 v1, v1, v17
	s_waitcnt vmcnt(3)
	v_pk_add_f16 v1, v1, v12
	;; [unrolled: 2-line block ×5, first 2 shown]
	v_pk_add_f16 v22, v6, v10 neg_lo:[0,1] neg_hi:[0,1]
	v_mov_b32_e32 v6, 0xb770
	v_pk_add_f16 v53, v2, v4
	v_pk_add_f16 v1, v1, v4
	v_lshrrev_b32_e32 v24, 16, v20
	v_pk_add_f16 v54, v2, v4 neg_lo:[0,1] neg_hi:[0,1]
	v_mul_f16_sdwa v6, v22, v6 dst_sel:DWORD dst_unused:UNUSED_PAD src0_sel:WORD_1 src1_sel:DWORD
	v_lshrrev_b32_e32 v55, 16, v53
	v_pk_add_f16 v1, v1, v8
	v_pk_add_f16 v1, v1, v16
	;; [unrolled: 1-line block ×5, first 2 shown]
	v_fma_f16 v10, v20, 0x3b15, -v6
	v_fmac_f16_e32 v6, 0x3b15, v20
	v_add_f16_e32 v23, v10, v5
	v_mul_f16_e32 v10, 0xb770, v22
	v_add_f16_e32 v26, v6, v5
	v_fmamk_f16 v11, v24, 0x3b15, v10
	v_fma_f16 v6, v24, 0x3b15, -v10
	v_add_f16_sdwa v25, v11, v5 dst_sel:DWORD dst_unused:UNUSED_PAD src0_sel:DWORD src1_sel:WORD_1
	v_mov_b32_e32 v11, 0xba95
	v_add_f16_sdwa v27, v6, v5 dst_sel:DWORD dst_unused:UNUSED_PAD src0_sel:DWORD src1_sel:WORD_1
	v_mul_f16_sdwa v6, v22, v11 dst_sel:DWORD dst_unused:UNUSED_PAD src0_sel:WORD_1 src1_sel:DWORD
	v_fma_f16 v10, v20, 0x388b, -v6
	v_fmac_f16_e32 v6, 0x388b, v20
	v_add_f16_e32 v28, v10, v5
	v_mul_f16_e32 v10, 0xba95, v22
	v_add_f16_e32 v30, v6, v5
	v_fma_f16 v6, v24, 0x388b, -v10
	v_fmamk_f16 v13, v24, 0x388b, v10
	v_add_f16_sdwa v31, v6, v5 dst_sel:DWORD dst_unused:UNUSED_PAD src0_sel:DWORD src1_sel:WORD_1
	v_mul_f16_sdwa v6, v22, v32 dst_sel:DWORD dst_unused:UNUSED_PAD src0_sel:WORD_1 src1_sel:DWORD
	v_add_f16_sdwa v29, v13, v5 dst_sel:DWORD dst_unused:UNUSED_PAD src0_sel:DWORD src1_sel:WORD_1
	v_fma_f16 v10, v20, 0x2fb7, -v6
	v_fmac_f16_e32 v6, 0x2fb7, v20
	v_add_f16_e32 v33, v10, v5
	v_mul_f16_e32 v10, 0xbbf1, v22
	v_add_f16_e32 v35, v6, v5
	v_fmamk_f16 v13, v24, 0x2fb7, v10
	v_fma_f16 v6, v24, 0x2fb7, -v10
	v_mov_b32_e32 v10, 0xbb7b
	v_add_f16_sdwa v34, v13, v5 dst_sel:DWORD dst_unused:UNUSED_PAD src0_sel:DWORD src1_sel:WORD_1
	v_add_f16_sdwa v36, v6, v5 dst_sel:DWORD dst_unused:UNUSED_PAD src0_sel:DWORD src1_sel:WORD_1
	v_mul_f16_sdwa v6, v22, v10 dst_sel:DWORD dst_unused:UNUSED_PAD src0_sel:WORD_1 src1_sel:DWORD
	v_fma_f16 v13, v20, 0xb5ac, -v6
	v_fmac_f16_e32 v6, 0xb5ac, v20
	v_add_f16_e32 v37, v13, v5
	v_mul_f16_e32 v13, 0xbb7b, v22
	v_add_f16_e32 v39, v6, v5
	v_fma_f16 v6, v24, 0xb5ac, -v13
	v_fmamk_f16 v14, v24, 0xb5ac, v13
	v_add_f16_sdwa v40, v6, v5 dst_sel:DWORD dst_unused:UNUSED_PAD src0_sel:DWORD src1_sel:WORD_1
	v_pk_mul_f16 v6, 0xb94e, v22 op_sel_hi:[0,1]
	v_add_f16_sdwa v38, v14, v5 dst_sel:DWORD dst_unused:UNUSED_PAD src0_sel:DWORD src1_sel:WORD_1
	v_pk_fma_f16 v13, 0xb9fd, v20, v6 op_sel:[0,0,1] op_sel_hi:[0,1,0] neg_lo:[0,0,1] neg_hi:[0,0,1]
	v_pk_fma_f16 v14, 0xb9fd, v20, v6 op_sel:[0,0,1] op_sel_hi:[0,1,0]
	v_bfi_b32 v6, 0xffff, v14, v13
	v_bfi_b32 v13, 0xffff, v13, v14
	v_pk_add_f16 v41, v6, v5
	v_mov_b32_e32 v6, 0xb3a8
	v_mul_f16_sdwa v42, v22, v6 dst_sel:DWORD dst_unused:UNUSED_PAD src0_sel:WORD_1 src1_sel:DWORD
	v_mul_f16_e32 v22, 0xb3a8, v22
	v_mul_f16_sdwa v4, v54, v6 dst_sel:DWORD dst_unused:UNUSED_PAD src0_sel:WORD_1 src1_sel:DWORD
	v_fma_f16 v43, v20, 0xbbc4, -v42
	v_fmamk_f16 v44, v24, 0xbbc4, v22
	v_fmac_f16_e32 v42, 0xbbc4, v20
	v_fma_f16 v20, v24, 0xbbc4, -v22
	v_pk_add_f16 v24, v9, v15
	v_mul_f16_sdwa v9, v45, v11 dst_sel:DWORD dst_unused:UNUSED_PAD src0_sel:WORD_1 src1_sel:DWORD
	v_add_f16_e32 v43, v43, v5
	v_add_f16_e32 v42, v42, v5
	v_add_f16_sdwa v22, v20, v5 dst_sel:DWORD dst_unused:UNUSED_PAD src0_sel:DWORD src1_sel:WORD_1
	v_lshrrev_b32_e32 v46, 16, v24
	v_fma_f16 v15, v24, 0x388b, -v9
	v_fmac_f16_e32 v9, 0x388b, v24
	v_add_f16_sdwa v44, v44, v5 dst_sel:DWORD dst_unused:UNUSED_PAD src0_sel:DWORD src1_sel:WORD_1
	v_fma_f16 v2, v53, 0xbbc4, -v4
	v_fmac_f16_e32 v4, 0xbbc4, v53
	v_add_f16_e32 v23, v15, v23
	v_mul_f16_e32 v15, 0xba95, v45
	v_add_f16_e32 v26, v9, v26
	v_pk_add_f16 v5, v13, v5
	v_fma_f16 v9, v46, 0x388b, -v15
	v_fmamk_f16 v20, v46, 0x388b, v15
	v_add_f16_e32 v27, v9, v27
	v_mul_f16_sdwa v9, v45, v10 dst_sel:DWORD dst_unused:UNUSED_PAD src0_sel:WORD_1 src1_sel:DWORD
	v_add_f16_e32 v25, v20, v25
	v_fma_f16 v15, v24, 0xb5ac, -v9
	v_fmac_f16_e32 v9, 0xb5ac, v24
	v_add_f16_e32 v28, v15, v28
	v_mul_f16_e32 v15, 0xbb7b, v45
	v_add_f16_e32 v30, v9, v30
	v_fma_f16 v9, v46, 0xb5ac, -v15
	v_fmamk_f16 v20, v46, 0xb5ac, v15
	v_add_f16_e32 v31, v9, v31
	v_mul_f16_sdwa v9, v45, v6 dst_sel:DWORD dst_unused:UNUSED_PAD src0_sel:WORD_1 src1_sel:DWORD
	v_add_f16_e32 v29, v20, v29
	v_fma_f16 v15, v24, 0xbbc4, -v9
	v_fmac_f16_e32 v9, 0xbbc4, v24
	v_add_f16_e32 v33, v15, v33
	v_mul_f16_e32 v15, 0xb3a8, v45
	v_add_f16_e32 v35, v9, v35
	;; [unrolled: 10-line block ×3, first 2 shown]
	v_fma_f16 v9, v46, 0xb9fd, -v15
	v_fmamk_f16 v20, v46, 0xb9fd, v15
	v_add_f16_e32 v40, v9, v40
	v_pk_mul_f16 v9, 0x3bf1, v45 op_sel_hi:[0,1]
	v_add_f16_e32 v38, v20, v38
	v_pk_fma_f16 v15, 0x2fb7, v24, v9 op_sel:[0,0,1] op_sel_hi:[0,1,0] neg_lo:[0,0,1] neg_hi:[0,0,1]
	v_pk_fma_f16 v20, 0x2fb7, v24, v9 op_sel:[0,0,1] op_sel_hi:[0,1,0]
	v_bfi_b32 v9, 0xffff, v20, v15
	v_bfi_b32 v13, 0xffff, v15, v20
                                        ; implicit-def: $vgpr20
	v_pk_add_f16 v41, v9, v41
	v_mov_b32_e32 v9, 0x3770
	v_pk_add_f16 v5, v13, v5
	v_mul_f16_sdwa v48, v45, v9 dst_sel:DWORD dst_unused:UNUSED_PAD src0_sel:WORD_1 src1_sel:DWORD
	v_mul_f16_e32 v45, 0x3770, v45
	v_fma_f16 v49, v24, 0x3b15, -v48
	v_fmac_f16_e32 v48, 0x3b15, v24
	v_add_f16_e32 v43, v49, v43
	v_add_f16_e32 v24, v48, v42
	v_fma_f16 v42, v46, 0x3b15, -v45
	v_fmamk_f16 v49, v46, 0x3b15, v45
	v_add_f16_e32 v22, v42, v22
	v_pk_add_f16 v42, v17, v21
	v_pk_add_f16 v17, v17, v21 neg_lo:[0,1] neg_hi:[0,1]
	v_add_f16_e32 v44, v49, v44
	v_mul_f16_sdwa v21, v17, v32 dst_sel:DWORD dst_unused:UNUSED_PAD src0_sel:WORD_1 src1_sel:DWORD
	v_mul_f16_e32 v46, 0xbbf1, v17
	v_fma_f16 v45, v42, 0x2fb7, -v21
	v_fmac_f16_e32 v21, 0x2fb7, v42
	v_add_f16_e32 v23, v45, v23
	v_lshrrev_b32_e32 v45, 16, v42
	v_add_f16_e32 v21, v21, v26
	v_fma_f16 v26, v45, 0x2fb7, -v46
	v_fmamk_f16 v48, v45, 0x2fb7, v46
	v_add_f16_e32 v26, v26, v27
	v_mul_f16_sdwa v27, v17, v6 dst_sel:DWORD dst_unused:UNUSED_PAD src0_sel:WORD_1 src1_sel:DWORD
	v_add_f16_e32 v25, v48, v25
	v_mul_f16_e32 v6, 0xb3a8, v54
	v_fma_f16 v46, v42, 0xbbc4, -v27
	v_fmac_f16_e32 v27, 0xbbc4, v42
	v_add_f16_e32 v46, v46, v28
	v_mul_f16_e32 v28, 0xb3a8, v17
	v_add_f16_e32 v30, v27, v30
	v_fma_f16 v27, v45, 0xbbc4, -v28
	v_fmamk_f16 v48, v45, 0xbbc4, v28
	v_add_f16_e32 v31, v27, v31
	v_mov_b32_e32 v27, 0x3b7b
	v_add_f16_e32 v29, v48, v29
	v_mul_f16_sdwa v27, v17, v27 dst_sel:DWORD dst_unused:UNUSED_PAD src0_sel:WORD_1 src1_sel:DWORD
	v_fma_f16 v28, v42, 0xb5ac, -v27
	v_fmac_f16_e32 v27, 0xb5ac, v42
	v_add_f16_e32 v33, v28, v33
	v_mul_f16_e32 v28, 0x3b7b, v17
	v_add_f16_e32 v35, v27, v35
	v_fma_f16 v27, v45, 0xb5ac, -v28
	v_fmamk_f16 v48, v45, 0xb5ac, v28
	v_add_f16_e32 v36, v27, v36
	v_mul_f16_sdwa v27, v17, v9 dst_sel:DWORD dst_unused:UNUSED_PAD src0_sel:WORD_1 src1_sel:DWORD
	v_add_f16_e32 v34, v48, v34
	v_fma_f16 v28, v42, 0x3b15, -v27
	v_fmac_f16_e32 v27, 0x3b15, v42
	v_add_f16_e32 v37, v28, v37
	v_mul_f16_e32 v28, 0x3770, v17
	v_add_f16_e32 v39, v27, v39
	v_fmamk_f16 v48, v45, 0x3b15, v28
	v_fma_f16 v27, v45, 0x3b15, -v28
	v_pk_mul_f16 v28, 0xba95, v17 op_sel_hi:[0,1]
	v_add_f16_e32 v38, v48, v38
	v_add_f16_e32 v40, v27, v40
	v_pk_fma_f16 v27, 0x388b, v42, v28 op_sel:[0,0,1] op_sel_hi:[0,1,0] neg_lo:[0,0,1] neg_hi:[0,0,1]
	v_pk_fma_f16 v28, 0x388b, v42, v28 op_sel:[0,0,1] op_sel_hi:[0,1,0]
	v_bfi_b32 v48, 0xffff, v28, v27
	v_bfi_b32 v13, 0xffff, v27, v28
                                        ; implicit-def: $vgpr28
                                        ; implicit-def: $vgpr27
	v_pk_add_f16 v41, v48, v41
	v_mov_b32_e32 v48, 0xb94e
	v_pk_add_f16 v5, v13, v5
	v_mul_f16_sdwa v49, v17, v48 dst_sel:DWORD dst_unused:UNUSED_PAD src0_sel:WORD_1 src1_sel:DWORD
	v_mul_f16_e32 v17, 0xb94e, v17
	v_fma_f16 v50, v42, 0xb9fd, -v49
	v_fmac_f16_e32 v49, 0xb9fd, v42
	v_add_f16_e32 v43, v50, v43
	v_fmamk_f16 v50, v45, 0xb9fd, v17
	v_fma_f16 v17, v45, 0xb9fd, -v17
	v_add_f16_e32 v24, v49, v24
	v_add_f16_e32 v44, v50, v44
	;; [unrolled: 1-line block ×3, first 2 shown]
	v_pk_add_f16 v22, v12, v16
	v_pk_add_f16 v12, v12, v16 neg_lo:[0,1] neg_hi:[0,1]
	v_mul_f16_sdwa v16, v12, v10 dst_sel:DWORD dst_unused:UNUSED_PAD src0_sel:WORD_1 src1_sel:DWORD
	v_mul_f16_e32 v45, 0xbb7b, v12
	v_mul_f16_sdwa v32, v12, v32 dst_sel:DWORD dst_unused:UNUSED_PAD src0_sel:WORD_1 src1_sel:DWORD
	v_fma_f16 v42, v22, 0xb5ac, -v16
	v_fmac_f16_e32 v16, 0xb5ac, v22
	v_add_f16_e32 v23, v42, v23
	v_lshrrev_b32_e32 v42, 16, v22
	v_add_f16_e32 v16, v16, v21
	v_fma_f16 v21, v42, 0xb5ac, -v45
	v_fmamk_f16 v49, v42, 0xb5ac, v45
	v_add_f16_e32 v21, v21, v26
	v_mul_f16_sdwa v26, v12, v47 dst_sel:DWORD dst_unused:UNUSED_PAD src0_sel:WORD_1 src1_sel:DWORD
	v_add_f16_e32 v25, v49, v25
	v_fma_f16 v45, v22, 0xb9fd, -v26
	v_fmac_f16_e32 v26, 0xb9fd, v22
	v_add_f16_e32 v45, v45, v46
	v_mul_f16_e32 v46, 0x394e, v12
	v_add_f16_e32 v26, v26, v30
	v_fma_f16 v30, v42, 0xb9fd, -v46
	v_fmamk_f16 v47, v42, 0xb9fd, v46
	v_add_f16_e32 v30, v30, v31
	v_mul_f16_sdwa v31, v12, v9 dst_sel:DWORD dst_unused:UNUSED_PAD src0_sel:WORD_1 src1_sel:DWORD
	v_add_f16_e32 v29, v47, v29
	v_fma_f16 v46, v22, 0x3b15, -v31
	v_fmac_f16_e32 v31, 0x3b15, v22
	v_add_f16_e32 v33, v46, v33
	v_mul_f16_e32 v46, 0x3770, v12
	v_add_f16_e32 v31, v31, v35
	v_fma_f16 v35, v42, 0x3b15, -v46
	v_fmamk_f16 v47, v42, 0x3b15, v46
	v_add_f16_e32 v35, v35, v36
	v_fma_f16 v36, v22, 0x2fb7, -v32
	v_fmac_f16_e32 v32, 0x2fb7, v22
	v_add_f16_e32 v34, v47, v34
	v_add_f16_e32 v36, v36, v37
	v_mul_f16_e32 v37, 0xbbf1, v12
	v_add_f16_e32 v32, v32, v39
	v_pk_mul_f16 v39, 0x33a8, v12 op_sel_hi:[0,1]
	v_fmamk_f16 v46, v42, 0x2fb7, v37
	v_fma_f16 v37, v42, 0x2fb7, -v37
	v_add_f16_e32 v38, v46, v38
	v_add_f16_e32 v37, v37, v40
	v_pk_fma_f16 v40, 0xbbc4, v22, v39 op_sel:[0,0,1] op_sel_hi:[0,1,0] neg_lo:[0,0,1] neg_hi:[0,0,1]
	v_pk_fma_f16 v39, 0xbbc4, v22, v39 op_sel:[0,0,1] op_sel_hi:[0,1,0]
	v_bfi_b32 v46, 0xffff, v39, v40
	v_bfi_b32 v13, 0xffff, v40, v39
	v_pk_add_f16 v41, v46, v41
	v_mov_b32_e32 v46, 0x3a95
	v_pk_add_f16 v5, v13, v5
	v_mul_f16_sdwa v47, v12, v46 dst_sel:DWORD dst_unused:UNUSED_PAD src0_sel:WORD_1 src1_sel:DWORD
	v_mul_f16_e32 v12, 0x3a95, v12
	v_fma_f16 v49, v22, 0x388b, -v47
	v_fmac_f16_e32 v47, 0x388b, v22
	v_add_f16_e32 v43, v49, v43
	v_fmamk_f16 v49, v42, 0x388b, v12
	v_fma_f16 v12, v42, 0x388b, -v12
	v_add_f16_e32 v22, v47, v24
	v_add_f16_e32 v44, v49, v44
	;; [unrolled: 1-line block ×3, first 2 shown]
	v_pk_add_f16 v17, v7, v8
	v_pk_add_f16 v7, v7, v8 neg_lo:[0,1] neg_hi:[0,1]
	v_mul_f16_sdwa v8, v7, v48 dst_sel:DWORD dst_unused:UNUSED_PAD src0_sel:WORD_1 src1_sel:DWORD
	v_mul_f16_e32 v42, 0xb94e, v7
	v_mul_f16_sdwa v11, v7, v11 dst_sel:DWORD dst_unused:UNUSED_PAD src0_sel:WORD_1 src1_sel:DWORD
	v_mul_f16_sdwa v10, v7, v10 dst_sel:DWORD dst_unused:UNUSED_PAD src0_sel:WORD_1 src1_sel:DWORD
	v_fma_f16 v24, v17, 0xb9fd, -v8
	v_fmac_f16_e32 v8, 0xb9fd, v17
	v_add_f16_e32 v23, v24, v23
	v_lshrrev_b32_e32 v24, 16, v17
	v_add_f16_e32 v8, v8, v16
	v_add_f16_e32 v2, v2, v23
	v_fmamk_f16 v47, v24, 0xb9fd, v42
	v_fma_f16 v16, v24, 0xb9fd, -v42
	v_mov_b32_e32 v42, 0x3bf1
	v_add_f16_e32 v4, v4, v8
	v_mul_f16_e32 v8, 0x3770, v54
	v_add_f16_e32 v25, v47, v25
	v_add_f16_e32 v16, v16, v21
	v_mul_f16_sdwa v21, v7, v42 dst_sel:DWORD dst_unused:UNUSED_PAD src0_sel:WORD_1 src1_sel:DWORD
	v_fma_f16 v47, v17, 0x2fb7, -v21
	v_fmac_f16_e32 v21, 0x2fb7, v17
	v_add_f16_e32 v45, v47, v45
	v_mul_f16_e32 v47, 0x3bf1, v7
	v_fmamk_f16 v49, v24, 0x2fb7, v47
	v_add_f16_e32 v29, v49, v29
	v_add_f16_e32 v49, v21, v26
	v_fma_f16 v21, v24, 0x2fb7, -v47
	v_add_f16_e32 v30, v21, v30
	v_fma_f16 v21, v17, 0x388b, -v11
	v_fmac_f16_e32 v11, 0x388b, v17
	v_add_f16_e32 v33, v21, v33
	v_mul_f16_e32 v21, 0xba95, v7
	v_add_f16_e32 v31, v11, v31
	v_fma_f16 v11, v24, 0x388b, -v21
	v_fmamk_f16 v26, v24, 0x388b, v21
	v_add_f16_e32 v35, v11, v35
	v_mov_b32_e32 v11, 0x33a8
	v_add_f16_e32 v34, v26, v34
	v_mul_f16_sdwa v11, v7, v11 dst_sel:DWORD dst_unused:UNUSED_PAD src0_sel:WORD_1 src1_sel:DWORD
	v_fma_f16 v21, v17, 0xbbc4, -v11
	v_fmac_f16_e32 v11, 0xbbc4, v17
	v_add_f16_e32 v36, v21, v36
	v_mul_f16_e32 v21, 0x33a8, v7
	v_add_f16_e32 v47, v11, v32
	v_fma_f16 v11, v24, 0xbbc4, -v21
	v_fmamk_f16 v26, v24, 0xbbc4, v21
	v_add_f16_e32 v37, v11, v37
	v_pk_mul_f16 v11, 0x3770, v7 op_sel_hi:[0,1]
	v_mul_f16_e32 v7, 0xbb7b, v7
	v_add_f16_e32 v38, v26, v38
	v_pk_fma_f16 v50, 0x3b15, v17, v11 op_sel:[0,0,1] op_sel_hi:[0,1,0] neg_lo:[0,0,1] neg_hi:[0,0,1]
	v_pk_fma_f16 v51, 0x3b15, v17, v11 op_sel:[0,0,1] op_sel_hi:[0,1,0]
	v_bfi_b32 v11, 0xffff, v51, v50
	v_bfi_b32 v13, 0xffff, v50, v51
	v_pk_add_f16 v41, v11, v41
	v_fma_f16 v11, v17, 0xb5ac, -v10
	v_fmac_f16_e32 v10, 0xb5ac, v17
	v_pk_add_f16 v5, v13, v5
	v_add_f16_e32 v43, v11, v43
	v_fmamk_f16 v11, v24, 0xb5ac, v7
	v_fma_f16 v7, v24, 0xb5ac, -v7
	v_add_f16_e32 v17, v10, v22
	v_add_f16_e32 v44, v11, v44
	;; [unrolled: 1-line block ×3, first 2 shown]
	v_fmamk_f16 v7, v55, 0xbbc4, v6
	v_fma_f16 v6, v55, 0xbbc4, -v6
	v_add_f16_e32 v24, v7, v25
	v_add_f16_e32 v21, v6, v16
	v_mul_f16_sdwa v6, v54, v9 dst_sel:DWORD dst_unused:UNUSED_PAD src0_sel:WORD_1 src1_sel:DWORD
	v_mul_f16_e32 v16, 0x3a95, v54
	v_fma_f16 v7, v53, 0x3b15, -v6
	v_fmac_f16_e32 v6, 0x3b15, v53
	v_add_f16_e32 v10, v7, v45
	v_fmamk_f16 v7, v55, 0x3b15, v8
	v_add_f16_e32 v26, v7, v29
	v_add_f16_e32 v7, v6, v49
	v_fma_f16 v6, v55, 0x3b15, -v8
	v_add_f16_e32 v22, v6, v30
	v_mul_f16_sdwa v6, v54, v48 dst_sel:DWORD dst_unused:UNUSED_PAD src0_sel:WORD_1 src1_sel:DWORD
	v_fma_f16 v8, v53, 0xb9fd, -v6
	v_fmac_f16_e32 v6, 0xb9fd, v53
	v_add_f16_e32 v11, v8, v33
	v_mul_f16_e32 v8, 0xb94e, v54
	v_add_f16_e32 v6, v6, v31
	v_mul_f16_sdwa v31, v54, v42 dst_sel:DWORD dst_unused:UNUSED_PAD src0_sel:WORD_1 src1_sel:DWORD
	v_fmamk_f16 v9, v55, 0xb9fd, v8
	v_fma_f16 v8, v55, 0xb9fd, -v8
	v_add_f16_e32 v29, v9, v34
	v_add_f16_e32 v23, v8, v35
	v_mul_f16_sdwa v8, v54, v46 dst_sel:DWORD dst_unused:UNUSED_PAD src0_sel:WORD_1 src1_sel:DWORD
	v_mul_f16_e32 v34, 0x3bf1, v54
	v_fma_f16 v9, v53, 0x388b, -v8
	v_fmac_f16_e32 v8, 0x388b, v53
	v_fmamk_f16 v30, v55, 0x2fb7, v34
	v_add_f16_e32 v12, v9, v36
	v_fmamk_f16 v9, v55, 0x388b, v16
	v_add_f16_e32 v30, v30, v44
	v_add_f16_e32 v32, v9, v38
	;; [unrolled: 1-line block ×3, first 2 shown]
	v_fma_f16 v8, v55, 0x388b, -v16
	v_fma_f16 v16, v53, 0x2fb7, -v31
	v_fmac_f16_e32 v31, 0x2fb7, v53
	v_pack_b32_f16 v38, v11, v29
	v_add_f16_e32 v25, v8, v37
	v_pk_mul_f16 v8, 0xbb7b, v54 op_sel_hi:[0,1]
	v_add_f16_e32 v17, v31, v17
	v_fma_f16 v31, v55, 0x2fb7, -v34
	v_add_f16_e32 v16, v16, v43
	v_mad_u32_u24 v34, 0x1d4, v19, 0
	v_pk_fma_f16 v33, 0xb5ac, v53, v8 op_sel:[0,0,1] op_sel_hi:[0,1,0] neg_lo:[0,0,1] neg_hi:[0,0,1]
	v_pk_fma_f16 v35, 0xb5ac, v53, v8 op_sel:[0,0,1] op_sel_hi:[0,1,0]
	v_add_f16_e32 v31, v31, v52
	v_pack_b32_f16 v37, v2, v24
	v_lshl_add_u32 v36, v18, 2, v34
	v_bfi_b32 v13, 0xffff, v33, v35
	v_bfi_b32 v8, 0xffff, v35, v33
	v_pack_b32_f16 v14, v17, v31
	ds_write2_b32 v36, v1, v37 offset1:9
	v_pack_b32_f16 v37, v10, v26
	v_pk_add_f16 v13, v13, v5
	v_pack_b32_f16 v5, v16, v30
	v_pk_add_f16 v8, v8, v41
	ds_write2_b32 v36, v37, v38 offset0:18 offset1:27
	v_pack_b32_f16 v37, v12, v32
	ds_write2_b32 v36, v5, v14 offset0:54 offset1:63
	v_pack_b32_f16 v5, v9, v25
	v_pack_b32_f16 v14, v7, v22
	v_lshrrev_b32_e32 v33, 16, v13
	ds_write2_b32 v36, v37, v13 offset0:36 offset1:45
	ds_write2_b32 v36, v8, v5 offset0:72 offset1:81
	v_pack_b32_f16 v5, v6, v23
	ds_write2_b32 v36, v5, v14 offset0:90 offset1:99
	v_pack_b32_f16 v5, v4, v21
                                        ; implicit-def: $vgpr14
	ds_write_b32 v36, v5 offset:432
	s_waitcnt lgkmcnt(0)
	s_barrier
	buffer_gl0_inv
	v_cmpx_gt_u32_e32 0x75, v0
	s_cbranch_execz .LBB0_17
; %bb.16:
	v_mul_i32_i24_e32 v1, 0xfffffe50, v19
	v_lshlrev_b32_e32 v2, 2, v18
	v_add3_u32 v10, v34, v1, v2
	v_add_nc_u32_e32 v4, 0xe00, v10
	v_add_nc_u32_e32 v11, 0x1400, v10
	;; [unrolled: 1-line block ×7, first 2 shown]
	ds_read2_b32 v[1:2], v10 offset1:117
	ds_read2_b32 v[8:9], v4 offset0:40 offset1:157
	ds_read2_b32 v[6:7], v5 offset0:18 offset1:135
	;; [unrolled: 1-line block ×7, first 2 shown]
	s_waitcnt lgkmcnt(7)
	v_lshrrev_b32_e32 v24, 16, v2
	s_waitcnt lgkmcnt(6)
	v_lshrrev_b32_e32 v25, 16, v9
	;; [unrolled: 2-line block ×3, first 2 shown]
	v_lshrrev_b32_e32 v22, 16, v7
	s_waitcnt lgkmcnt(4)
	v_lshrrev_b32_e32 v21, 16, v4
	v_lshrrev_b32_e32 v28, 16, v5
	s_waitcnt lgkmcnt(3)
	v_lshrrev_b32_e32 v27, 16, v14
	;; [unrolled: 3-line block ×5, first 2 shown]
	v_lshrrev_b32_e32 v31, 16, v17
.LBB0_17:
	s_or_b32 exec_lo, exec_lo, s1
	v_mul_hi_u32 v34, 0x13b13b14, v19
	v_lshrrev_b32_e32 v50, 16, v8
	s_add_i32 s0, 0, 0x1d40
	v_cmp_gt_u32_e64 s1, 0x75, v0
	v_mul_lo_u32 v18, s22, v18
	s_mul_i32 s2, s8, s2
	s_mov_b32 s4, s18
	s_add_i32 s2, s2, s21
	v_mul_u32_u24_e32 v34, 13, v34
	s_mov_b32 s5, s19
	v_sub_nc_u32_e32 v19, v19, v34
	v_mul_u32_u24_e32 v34, 15, v19
	v_mul_lo_u32 v49, v19, v3
	v_mul_lo_u32 v3, v3, 13
	v_lshlrev_b32_e32 v46, 2, v34
	s_clause 0x3
	global_load_dwordx4 v[34:37], v46, s[28:29]
	global_load_dwordx4 v[38:41], v46, s[28:29] offset:16
	global_load_dwordx4 v[42:45], v46, s[28:29] offset:32
	global_load_dwordx3 v[46:48], v46, s[28:29] offset:48
	v_and_b32_e32 v51, 63, v49
	v_lshrrev_b32_e32 v52, 4, v49
	v_lshrrev_b32_e32 v53, 10, v49
	v_add_nc_u32_e32 v49, v49, v3
	v_lshl_add_u32 v51, v51, 2, 0
	v_and_b32_e32 v52, 0xfc, v52
	v_and_b32_e32 v53, 0xfc, v53
	;; [unrolled: 1-line block ×3, first 2 shown]
	v_lshrrev_b32_e32 v55, 4, v49
	v_lshrrev_b32_e32 v56, 10, v49
	v_add_nc_u32_e32 v49, v49, v3
	v_add_nc_u32_e32 v52, s0, v52
	;; [unrolled: 1-line block ×3, first 2 shown]
	v_and_b32_e32 v55, 0xfc, v55
	v_lshl_add_u32 v54, v54, 2, 0
	v_add_nc_u32_e32 v55, s0, v55
	s_waitcnt vmcnt(3)
	v_mul_f16_sdwa v57, v26, v35 dst_sel:DWORD dst_unused:UNUSED_PAD src0_sel:DWORD src1_sel:WORD_1
	v_mul_f16_sdwa v58, v29, v36 dst_sel:DWORD dst_unused:UNUSED_PAD src0_sel:DWORD src1_sel:WORD_1
	;; [unrolled: 1-line block ×3, first 2 shown]
	v_fma_f16 v10, v10, v35, -v57
	v_fma_f16 v57, v11, v36, -v58
	v_mul_f16_sdwa v11, v11, v36 dst_sel:DWORD dst_unused:UNUSED_PAD src0_sel:DWORD src1_sel:WORD_1
	v_mul_f16_sdwa v58, v2, v34 dst_sel:DWORD dst_unused:UNUSED_PAD src0_sel:DWORD src1_sel:WORD_1
	v_fmac_f16_e32 v59, v26, v35
	v_mul_f16_sdwa v26, v12, v37 dst_sel:DWORD dst_unused:UNUSED_PAD src0_sel:DWORD src1_sel:WORD_1
	v_and_b32_e32 v35, 0xfc, v56
	v_fmac_f16_e32 v11, v29, v36
	v_fmac_f16_e32 v58, v24, v34
	v_mul_f16_sdwa v24, v24, v34 dst_sel:DWORD dst_unused:UNUSED_PAD src0_sel:DWORD src1_sel:WORD_1
	v_mul_f16_sdwa v29, v32, v37 dst_sel:DWORD dst_unused:UNUSED_PAD src0_sel:DWORD src1_sel:WORD_1
	v_fmac_f16_e32 v26, v32, v37
	s_waitcnt vmcnt(2)
	v_mul_f16_sdwa v32, v33, v38 dst_sel:DWORD dst_unused:UNUSED_PAD src0_sel:DWORD src1_sel:WORD_1
	v_mul_f16_sdwa v36, v31, v40 dst_sel:DWORD dst_unused:UNUSED_PAD src0_sel:DWORD src1_sel:WORD_1
	v_fma_f16 v2, v2, v34, -v24
	v_fma_f16 v12, v12, v37, -v29
	v_mul_f16_sdwa v34, v30, v39 dst_sel:DWORD dst_unused:UNUSED_PAD src0_sel:DWORD src1_sel:WORD_1
	v_fma_f16 v32, v13, v38, -v32
	v_mul_f16_sdwa v13, v13, v38 dst_sel:DWORD dst_unused:UNUSED_PAD src0_sel:DWORD src1_sel:WORD_1
	v_mul_f16_sdwa v37, v16, v39 dst_sel:DWORD dst_unused:UNUSED_PAD src0_sel:DWORD src1_sel:WORD_1
	v_and_b32_e32 v24, 63, v49
	v_lshrrev_b32_e32 v29, 4, v49
	v_fma_f16 v16, v16, v39, -v34
	v_fma_f16 v34, v17, v40, -v36
	v_mul_f16_sdwa v17, v17, v40 dst_sel:DWORD dst_unused:UNUSED_PAD src0_sel:DWORD src1_sel:WORD_1
	v_lshrrev_b32_e32 v36, 10, v49
	v_add_nc_u32_e32 v49, v49, v3
	v_fmac_f16_e32 v13, v33, v38
	v_mul_f16_sdwa v33, v8, v41 dst_sel:DWORD dst_unused:UNUSED_PAD src0_sel:DWORD src1_sel:WORD_1
	v_fmac_f16_e32 v37, v30, v39
	v_mul_f16_sdwa v30, v50, v41 dst_sel:DWORD dst_unused:UNUSED_PAD src0_sel:DWORD src1_sel:WORD_1
	v_fmac_f16_e32 v17, v31, v40
	v_and_b32_e32 v31, 63, v49
	v_fmac_f16_e32 v33, v50, v41
	v_lshrrev_b32_e32 v38, 4, v49
	v_fma_f16 v8, v8, v41, -v30
	v_lshrrev_b32_e32 v30, 10, v49
	v_add_nc_u32_e32 v39, v49, v3
	s_waitcnt vmcnt(1)
	v_mul_f16_sdwa v41, v23, v43 dst_sel:DWORD dst_unused:UNUSED_PAD src0_sel:DWORD src1_sel:WORD_1
	v_mul_f16_sdwa v49, v22, v44 dst_sel:DWORD dst_unused:UNUSED_PAD src0_sel:DWORD src1_sel:WORD_1
	;; [unrolled: 1-line block ×4, first 2 shown]
	v_and_b32_e32 v29, 0xfc, v29
	v_fma_f16 v6, v6, v43, -v41
	v_fma_f16 v41, v7, v44, -v49
	v_mul_f16_sdwa v7, v7, v44 dst_sel:DWORD dst_unused:UNUSED_PAD src0_sel:DWORD src1_sel:WORD_1
	v_fma_f16 v40, v9, v42, -v40
	v_mul_f16_sdwa v9, v9, v42 dst_sel:DWORD dst_unused:UNUSED_PAD src0_sel:DWORD src1_sel:WORD_1
	v_add_nc_u32_e32 v35, s0, v35
	v_lshl_add_u32 v24, v24, 2, 0
	v_fmac_f16_e32 v7, v22, v44
	v_mul_f16_sdwa v22, v4, v45 dst_sel:DWORD dst_unused:UNUSED_PAD src0_sel:DWORD src1_sel:WORD_1
	v_add_nc_u32_e32 v29, s0, v29
	v_fmac_f16_e32 v9, v25, v42
	v_fmac_f16_e32 v50, v23, v43
	ds_read_b32 v42, v51 offset:7488
	ds_read_b32 v43, v52 offset:256
	;; [unrolled: 1-line block ×8, first 2 shown]
	v_fmac_f16_e32 v22, v21, v45
	v_mul_f16_sdwa v21, v21, v45 dst_sel:DWORD dst_unused:UNUSED_PAD src0_sel:DWORD src1_sel:WORD_1
	s_waitcnt vmcnt(0)
	v_mul_f16_sdwa v53, v27, v47 dst_sel:DWORD dst_unused:UNUSED_PAD src0_sel:DWORD src1_sel:WORD_1
	v_mul_f16_sdwa v54, v20, v48 dst_sel:DWORD dst_unused:UNUSED_PAD src0_sel:DWORD src1_sel:WORD_1
	v_and_b32_e32 v36, 0xfc, v36
	v_mul_f16_sdwa v55, v14, v47 dst_sel:DWORD dst_unused:UNUSED_PAD src0_sel:DWORD src1_sel:WORD_1
	v_fma_f16 v4, v4, v45, -v21
	v_mul_f16_sdwa v21, v28, v46 dst_sel:DWORD dst_unused:UNUSED_PAD src0_sel:DWORD src1_sel:WORD_1
	v_fma_f16 v14, v14, v47, -v53
	v_fma_f16 v53, v15, v48, -v54
	v_mul_f16_sdwa v15, v15, v48 dst_sel:DWORD dst_unused:UNUSED_PAD src0_sel:DWORD src1_sel:WORD_1
	v_add_nc_u32_e32 v36, s0, v36
	v_fma_f16 v21, v5, v46, -v21
	v_mul_f16_sdwa v5, v5, v46 dst_sel:DWORD dst_unused:UNUSED_PAD src0_sel:DWORD src1_sel:WORD_1
	v_and_b32_e32 v38, 0xfc, v38
	v_fmac_f16_e32 v55, v27, v47
	s_waitcnt lgkmcnt(7)
	v_lshrrev_b32_e32 v27, 16, v42
	v_fmac_f16_e32 v15, v20, v48
	v_fmac_f16_e32 v5, v28, v46
	s_waitcnt lgkmcnt(6)
	v_mul_f16_sdwa v20, v42, v43 dst_sel:DWORD dst_unused:UNUSED_PAD src0_sel:DWORD src1_sel:WORD_1
	s_waitcnt lgkmcnt(4)
	v_lshrrev_b32_e32 v46, 16, v51
	v_lshl_add_u32 v31, v31, 2, 0
	v_and_b32_e32 v30, 0xfc, v30
	v_add_nc_u32_e32 v38, s0, v38
	v_mul_f16_sdwa v48, v27, v43 dst_sel:DWORD dst_unused:UNUSED_PAD src0_sel:DWORD src1_sel:WORD_1
	v_fmac_f16_e32 v20, v27, v43
	s_waitcnt lgkmcnt(3)
	v_mul_f16_sdwa v27, v46, v52 dst_sel:DWORD dst_unused:UNUSED_PAD src0_sel:DWORD src1_sel:WORD_1
	ds_read_b32 v36, v36 offset:512
	ds_read_b32 v31, v31 offset:7488
	v_and_b32_e32 v49, 63, v39
	v_lshrrev_b32_e32 v25, 4, v39
	v_lshrrev_b32_e32 v23, 10, v39
	v_add_nc_u32_e32 v39, v39, v3
	v_add_nc_u32_e32 v30, s0, v30
	v_fma_f16 v42, v42, v43, -v48
	v_mul_f16_sdwa v48, v51, v52 dst_sel:DWORD dst_unused:UNUSED_PAD src0_sel:DWORD src1_sel:WORD_1
	v_fma_f16 v27, v51, v52, -v27
	v_mul_f16_sdwa v51, v20, v44 dst_sel:DWORD dst_unused:UNUSED_PAD src0_sel:DWORD src1_sel:WORD_1
	ds_read_b32 v38, v38 offset:256
	v_lshl_add_u32 v49, v49, 2, 0
	v_and_b32_e32 v25, 0xfc, v25
	v_and_b32_e32 v23, 0xfc, v23
	;; [unrolled: 1-line block ×3, first 2 shown]
	v_fmac_f16_e32 v48, v46, v52
	v_mul_f16_sdwa v52, v42, v44 dst_sel:DWORD dst_unused:UNUSED_PAD src0_sel:DWORD src1_sel:WORD_1
	v_fma_f16 v42, v44, v42, -v51
	s_waitcnt lgkmcnt(4)
	v_lshrrev_b32_e32 v51, 16, v24
	ds_read_b32 v30, v30 offset:512
	ds_read_b32 v49, v49 offset:7488
	v_add_nc_u32_e32 v25, s0, v25
	v_add_nc_u32_e32 v23, s0, v23
	v_lshl_add_u32 v45, v45, 2, 0
	v_fmac_f16_e32 v52, v44, v20
	s_waitcnt lgkmcnt(5)
	v_mul_f16_sdwa v20, v51, v29 dst_sel:DWORD dst_unused:UNUSED_PAD src0_sel:DWORD src1_sel:WORD_1
	v_mul_f16_sdwa v44, v24, v29 dst_sel:DWORD dst_unused:UNUSED_PAD src0_sel:DWORD src1_sel:WORD_1
	ds_read_b32 v25, v25 offset:256
	ds_read_b32 v23, v23 offset:512
	;; [unrolled: 1-line block ×3, first 2 shown]
	v_lshrrev_b32_e32 v54, 4, v39
	v_lshrrev_b32_e32 v28, 10, v39
	v_fma_f16 v20, v24, v29, -v20
	v_mul_f16_sdwa v24, v48, v35 dst_sel:DWORD dst_unused:UNUSED_PAD src0_sel:DWORD src1_sel:WORD_1
	v_fmac_f16_e32 v44, v51, v29
	s_waitcnt lgkmcnt(6)
	v_lshrrev_b32_e32 v29, 16, v31
	v_mul_f16_sdwa v51, v27, v35 dst_sel:DWORD dst_unused:UNUSED_PAD src0_sel:DWORD src1_sel:WORD_1
	v_add_nc_u32_e32 v39, v39, v3
	v_fma_f16 v24, v35, v27, -v24
	v_and_b32_e32 v47, 0xfc, v54
	s_waitcnt lgkmcnt(5)
	v_mul_f16_sdwa v27, v29, v38 dst_sel:DWORD dst_unused:UNUSED_PAD src0_sel:DWORD src1_sel:WORD_1
	v_fmac_f16_e32 v51, v35, v48
	v_mul_f16_sdwa v35, v31, v38 dst_sel:DWORD dst_unused:UNUSED_PAD src0_sel:DWORD src1_sel:WORD_1
	s_waitcnt lgkmcnt(3)
	v_lshrrev_b32_e32 v48, 16, v49
	v_and_b32_e32 v28, 0xfc, v28
	v_fma_f16 v27, v31, v38, -v27
	v_mul_f16_sdwa v31, v44, v36 dst_sel:DWORD dst_unused:UNUSED_PAD src0_sel:DWORD src1_sel:WORD_1
	v_lshrrev_b32_e32 v43, 4, v39
	v_add_nc_u32_e32 v47, s0, v47
	v_fmac_f16_e32 v35, v29, v38
	v_mul_f16_sdwa v29, v20, v36 dst_sel:DWORD dst_unused:UNUSED_PAD src0_sel:DWORD src1_sel:WORD_1
	v_fma_f16 v20, v36, v20, -v31
	s_waitcnt lgkmcnt(2)
	v_mul_f16_sdwa v31, v48, v25 dst_sel:DWORD dst_unused:UNUSED_PAD src0_sel:DWORD src1_sel:WORD_1
	v_and_b32_e32 v54, 63, v39
	v_add_nc_u32_e32 v28, s0, v28
	v_and_b32_e32 v43, 0xfc, v43
	ds_read_b32 v47, v47 offset:256
	v_fma_f16 v31, v49, v25, -v31
	v_mul_f16_sdwa v49, v49, v25 dst_sel:DWORD dst_unused:UNUSED_PAD src0_sel:DWORD src1_sel:WORD_1
	v_lshl_add_u32 v54, v54, 2, 0
	v_lshrrev_b32_e32 v46, 10, v39
	v_add_nc_u32_e32 v39, v39, v3
	v_add_nc_u32_e32 v43, s0, v43
	v_fmac_f16_e32 v49, v48, v25
	ds_read_b32 v28, v28 offset:512
	ds_read_b32 v48, v54 offset:7488
	v_fmac_f16_e32 v29, v36, v44
	v_lshrrev_b32_e32 v36, 4, v39
	v_mul_f16_sdwa v25, v35, v30 dst_sel:DWORD dst_unused:UNUSED_PAD src0_sel:DWORD src1_sel:WORD_1
	ds_read_b32 v43, v43 offset:256
	v_lshrrev_b32_e32 v44, 10, v39
	v_and_b32_e32 v38, 0xfc, v46
	v_and_b32_e32 v46, 63, v39
	;; [unrolled: 1-line block ×3, first 2 shown]
	s_waitcnt lgkmcnt(4)
	v_lshrrev_b32_e32 v54, 16, v45
	v_fma_f16 v25, v30, v27, -v25
	v_mul_f16_sdwa v27, v27, v30 dst_sel:DWORD dst_unused:UNUSED_PAD src0_sel:DWORD src1_sel:WORD_1
	v_and_b32_e32 v44, 0xfc, v44
	v_add_nc_u32_e32 v38, s0, v38
	v_lshl_add_u32 v46, v46, 2, 0
	v_add_nc_u32_e32 v36, s0, v36
	v_fmac_f16_e32 v27, v30, v35
	s_waitcnt lgkmcnt(3)
	v_mul_f16_sdwa v30, v54, v47 dst_sel:DWORD dst_unused:UNUSED_PAD src0_sel:DWORD src1_sel:WORD_1
	v_mul_f16_sdwa v35, v45, v47 dst_sel:DWORD dst_unused:UNUSED_PAD src0_sel:DWORD src1_sel:WORD_1
	v_add_nc_u32_e32 v44, s0, v44
	ds_read_b32 v38, v38 offset:512
	ds_read_b32 v46, v46 offset:7488
	;; [unrolled: 1-line block ×4, first 2 shown]
	v_fma_f16 v30, v45, v47, -v30
	v_mul_f16_sdwa v45, v49, v23 dst_sel:DWORD dst_unused:UNUSED_PAD src0_sel:DWORD src1_sel:WORD_1
	v_fmac_f16_e32 v35, v54, v47
	s_waitcnt lgkmcnt(5)
	v_lshrrev_b32_e32 v47, 16, v48
	v_mul_f16_sdwa v54, v31, v23 dst_sel:DWORD dst_unused:UNUSED_PAD src0_sel:DWORD src1_sel:WORD_1
	v_sub_f16_e32 v8, v1, v8
	v_fma_f16 v31, v23, v31, -v45
	v_sub_f16_e32 v22, v26, v22
	s_waitcnt lgkmcnt(4)
	v_mul_f16_sdwa v45, v47, v43 dst_sel:DWORD dst_unused:UNUSED_PAD src0_sel:DWORD src1_sel:WORD_1
	v_fmac_f16_e32 v54, v23, v49
	v_mul_f16_sdwa v23, v48, v43 dst_sel:DWORD dst_unused:UNUSED_PAD src0_sel:DWORD src1_sel:WORD_1
	v_lshrrev_b32_e32 v49, 16, v1
	v_sub_f16_e32 v6, v10, v6
	v_fma_f16 v45, v48, v43, -v45
	v_mul_f16_sdwa v48, v35, v28 dst_sel:DWORD dst_unused:UNUSED_PAD src0_sel:DWORD src1_sel:WORD_1
	v_fmac_f16_e32 v23, v47, v43
	v_mul_f16_sdwa v43, v30, v28 dst_sel:DWORD dst_unused:UNUSED_PAD src0_sel:DWORD src1_sel:WORD_1
	v_sub_f16_e32 v4, v12, v4
	v_sub_f16_e32 v14, v16, v14
	v_fma_f16 v30, v28, v30, -v48
	s_waitcnt lgkmcnt(3)
	v_mul_f16_sdwa v47, v23, v38 dst_sel:DWORD dst_unused:UNUSED_PAD src0_sel:DWORD src1_sel:WORD_1
	v_fmac_f16_e32 v43, v28, v35
	v_mul_f16_sdwa v28, v45, v38 dst_sel:DWORD dst_unused:UNUSED_PAD src0_sel:DWORD src1_sel:WORD_1
	v_sub_f16_e32 v40, v2, v40
	v_sub_f16_e32 v9, v58, v9
	v_fma_f16 v45, v38, v45, -v47
	v_sub_f16_e32 v21, v32, v21
	v_fmac_f16_e32 v28, v38, v23
	v_sub_f16_e32 v38, v37, v55
	v_sub_f16_e32 v23, v49, v33
	;; [unrolled: 1-line block ×8, first 2 shown]
	v_fma_f16 v26, v26, 2.0, -v22
	v_fma_f16 v37, v37, 2.0, -v38
	v_sub_f16_e32 v22, v8, v22
	v_sub_f16_e32 v38, v6, v38
	v_fma_f16 v1, v1, 2.0, -v8
	v_fma_f16 v12, v12, 2.0, -v4
	;; [unrolled: 1-line block ×11, first 2 shown]
	v_add_f16_e32 v4, v23, v4
	v_add_f16_e32 v14, v33, v14
	v_sub_f16_e32 v5, v40, v5
	v_add_f16_e32 v21, v9, v21
	v_sub_f16_e32 v15, v41, v15
	v_add_f16_e32 v50, v7, v50
	v_fmamk_f16 v57, v38, 0x39a8, v22
	v_fma_f16 v49, v49, 2.0, -v23
	v_fma_f16 v10, v10, 2.0, -v6
	;; [unrolled: 1-line block ×3, first 2 shown]
	v_sub_f16_e32 v12, v1, v12
	v_fma_f16 v8, v8, 2.0, -v22
	v_sub_f16_e32 v37, v53, v37
	v_fma_f16 v6, v6, 2.0, -v38
	v_fma_f16 v33, v33, 2.0, -v14
	v_sub_f16_e32 v32, v2, v32
	v_fma_f16 v40, v40, 2.0, -v5
	v_sub_f16_e32 v17, v11, v17
	v_fma_f16 v41, v41, 2.0, -v15
	v_fmamk_f16 v58, v14, 0x39a8, v4
	v_fmac_f16_e32 v57, 0xb9a8, v14
	v_fmamk_f16 v14, v50, 0x39a8, v21
	v_sub_f16_e32 v26, v49, v26
	v_fma_f16 v23, v23, 2.0, -v4
	v_sub_f16_e32 v16, v10, v16
	v_sub_f16_e32 v13, v55, v13
	v_fma_f16 v9, v9, 2.0, -v21
	v_sub_f16_e32 v34, v56, v34
	v_fma_f16 v7, v7, 2.0, -v50
	v_fmamk_f16 v59, v15, 0x39a8, v5
	v_fma_f16 v53, v53, 2.0, -v37
	v_fma_f16 v11, v11, 2.0, -v17
	v_fmac_f16_e32 v58, 0x39a8, v38
	v_fmamk_f16 v38, v6, 0xb9a8, v8
	v_sub_f16_e32 v37, v12, v37
	v_fmac_f16_e32 v14, 0x39a8, v15
	v_fmamk_f16 v15, v41, 0xb9a8, v40
	v_sub_f16_e32 v17, v32, v17
	v_fma_f16 v10, v10, 2.0, -v16
	v_fma_f16 v2, v2, 2.0, -v32
	;; [unrolled: 1-line block ×3, first 2 shown]
	v_fmac_f16_e32 v59, 0xb9a8, v50
	v_fmamk_f16 v50, v33, 0xb9a8, v23
	v_add_f16_e32 v16, v26, v16
	v_fmac_f16_e32 v38, 0xb9a8, v33
	v_fmamk_f16 v33, v7, 0xb9a8, v9
	v_add_f16_e32 v34, v13, v34
	v_fmac_f16_e32 v15, 0xb9a8, v7
	v_fma_f16 v7, v32, 2.0, -v17
	v_fmamk_f16 v32, v17, 0x39a8, v37
	v_fma_f16 v1, v1, 2.0, -v12
	v_fma_f16 v49, v49, 2.0, -v26
	;; [unrolled: 1-line block ×3, first 2 shown]
	v_fmac_f16_e32 v50, 0x39a8, v6
	v_fma_f16 v6, v12, 2.0, -v37
	v_fma_f16 v12, v26, 2.0, -v16
	;; [unrolled: 1-line block ×3, first 2 shown]
	v_sub_f16_e32 v26, v2, v56
	v_fmac_f16_e32 v33, 0x39a8, v41
	v_fma_f16 v13, v13, 2.0, -v34
	v_fma_f16 v5, v5, 2.0, -v59
	v_fmamk_f16 v41, v34, 0x39a8, v16
	v_fmamk_f16 v56, v59, 0x3b64, v57
	v_fmac_f16_e32 v32, 0xb9a8, v34
	v_fmamk_f16 v34, v14, 0x3b64, v58
	v_sub_f16_e32 v10, v1, v10
	v_sub_f16_e32 v53, v49, v53
	v_fma_f16 v4, v4, 2.0, -v58
	v_sub_f16_e32 v11, v55, v11
	v_fma_f16 v21, v21, 2.0, -v14
	v_fmac_f16_e32 v41, 0x39a8, v17
	v_fmamk_f16 v17, v7, 0xb9a8, v6
	v_fmac_f16_e32 v56, 0xb61f, v14
	v_fmamk_f16 v14, v13, 0xb9a8, v12
	;; [unrolled: 2-line block ×3, first 2 shown]
	v_fma_f16 v1, v1, 2.0, -v10
	v_fma_f16 v49, v49, 2.0, -v53
	;; [unrolled: 1-line block ×8, first 2 shown]
	v_fmac_f16_e32 v17, 0xb9a8, v13
	v_fmamk_f16 v13, v21, 0xb61f, v4
	v_sub_f16_e32 v11, v10, v11
	v_add_f16_e32 v26, v53, v26
	v_fmac_f16_e32 v14, 0x39a8, v7
	v_fmamk_f16 v7, v15, 0x361f, v38
	v_fmac_f16_e32 v59, 0xbb64, v21
	v_fmamk_f16 v21, v33, 0x361f, v50
	v_sub_f16_e32 v2, v1, v2
	v_sub_f16_e32 v55, v49, v55
	v_fmac_f16_e32 v13, 0x3b64, v5
	v_fmamk_f16 v5, v40, 0xbb64, v8
	v_fmac_f16_e32 v7, 0xbb64, v33
	v_fmamk_f16 v33, v9, 0xbb64, v23
	v_fma_f16 v10, v10, 2.0, -v11
	v_fma_f16 v53, v53, 2.0, -v26
	v_fmac_f16_e32 v21, 0x3b64, v15
	v_fma_f16 v1, v1, 2.0, -v2
	v_fma_f16 v49, v49, 2.0, -v55
	v_fmac_f16_e32 v5, 0xb61f, v9
	v_fmac_f16_e32 v33, 0x361f, v40
	v_fma_f16 v9, v12, 2.0, -v14
	v_fma_f16 v12, v22, 2.0, -v59
	;; [unrolled: 1-line block ×5, first 2 shown]
	v_mul_f16_e32 v40, v53, v54
	v_mul_f16_e32 v50, v10, v54
	v_add_nc_u32_e32 v39, v39, v3
	v_fma_f16 v8, v8, 2.0, -v5
	v_mul_f16_e32 v54, v52, v49
	v_mul_f16_e32 v52, v52, v1
	v_fma_f16 v10, v10, v31, -v40
	v_mul_f16_e32 v40, v4, v27
	v_mul_f16_e32 v27, v12, v27
	v_fmac_f16_e32 v50, v53, v31
	v_mul_f16_e32 v31, v38, v43
	v_lshrrev_b32_e32 v35, 4, v39
	v_fma_f16 v23, v23, 2.0, -v33
	v_mul_f16_e32 v43, v22, v43
	v_fmac_f16_e32 v52, v42, v49
	v_mul_f16_e32 v49, v8, v51
	v_fmac_f16_e32 v27, v4, v25
	v_fma_f16 v4, v22, v30, -v31
	v_and_b32_e32 v22, 63, v39
	v_fma_f16 v6, v6, 2.0, -v17
	v_fma_f16 v1, v42, v1, -v54
	v_mul_f16_e32 v42, v23, v51
	v_fmac_f16_e32 v49, v23, v24
	v_and_b32_e32 v23, 0xfc, v35
	v_lshl_add_u32 v22, v22, 2, 0
	v_fma_f16 v15, v37, 2.0, -v32
	v_fma_f16 v37, v57, 2.0, -v56
	;; [unrolled: 1-line block ×3, first 2 shown]
	v_mul_f16_e32 v58, v9, v29
	v_mul_f16_e32 v29, v6, v29
	v_lshrrev_b32_e32 v48, 10, v39
	v_add_nc_u32_e32 v23, s0, v23
	ds_read_b32 v22, v22 offset:7488
	v_fma_f16 v8, v8, v24, -v42
	v_fmac_f16_e32 v29, v9, v20
	v_fma_f16 v9, v12, v25, -v40
	ds_read_b32 v23, v23 offset:256
	v_add_nc_u32_e32 v25, v39, v3
	v_and_b32_e32 v24, 0xfc, v48
	s_waitcnt lgkmcnt(4)
	v_lshrrev_b32_e32 v47, 16, v46
	v_fma_f16 v6, v6, v20, -v58
	v_fma_f16 v16, v16, 2.0, -v41
	v_add_nc_u32_e32 v31, v25, v3
	v_lshrrev_b32_e32 v35, 4, v25
	v_lshrrev_b32_e32 v39, 10, v25
	v_and_b32_e32 v25, 63, v25
	v_add_nc_u32_e32 v24, s0, v24
	v_lshrrev_b32_e32 v40, 4, v31
	v_and_b32_e32 v35, 0xfc, v35
	v_and_b32_e32 v39, 0xfc, v39
	v_lshl_add_u32 v25, v25, 2, 0
	s_waitcnt lgkmcnt(3)
	v_mul_f16_sdwa v20, v47, v36 dst_sel:DWORD dst_unused:UNUSED_PAD src0_sel:DWORD src1_sel:WORD_1
	v_and_b32_e32 v42, 63, v31
	ds_read_b32 v24, v24 offset:512
	ds_read_b32 v25, v25 offset:7488
	v_and_b32_e32 v40, 0xfc, v40
	v_add_nc_u32_e32 v35, s0, v35
	v_add_nc_u32_e32 v39, s0, v39
	v_fma_f16 v20, v46, v36, -v20
	v_lshl_add_u32 v42, v42, 2, 0
	v_mul_f16_sdwa v46, v46, v36 dst_sel:DWORD dst_unused:UNUSED_PAD src0_sel:DWORD src1_sel:WORD_1
	s_waitcnt lgkmcnt(3)
	v_lshrrev_b32_e32 v48, 16, v22
	v_add_nc_u32_e32 v40, s0, v40
	ds_read_b32 v35, v35 offset:256
	ds_read_b32 v39, v39 offset:512
	;; [unrolled: 1-line block ×4, first 2 shown]
	v_fmac_f16_e32 v46, v47, v36
	v_mul_f16_sdwa v36, v20, v44 dst_sel:DWORD dst_unused:UNUSED_PAD src0_sel:DWORD src1_sel:WORD_1
	v_fmac_f16_e32 v43, v38, v30
	s_waitcnt lgkmcnt(6)
	v_mul_f16_sdwa v30, v48, v23 dst_sel:DWORD dst_unused:UNUSED_PAD src0_sel:DWORD src1_sel:WORD_1
	v_mul_f16_e32 v12, v16, v28
	v_mul_f16_sdwa v38, v46, v44 dst_sel:DWORD dst_unused:UNUSED_PAD src0_sel:DWORD src1_sel:WORD_1
	v_fmac_f16_e32 v36, v44, v46
	v_mul_f16_sdwa v46, v22, v23 dst_sel:DWORD dst_unused:UNUSED_PAD src0_sel:DWORD src1_sel:WORD_1
	v_fma_f16 v22, v22, v23, -v30
	v_fma_f16 v12, v15, v45, -v12
	v_mul_f16_e32 v15, v15, v28
	v_fma_f16 v20, v44, v20, -v38
	v_mul_f16_e32 v28, v57, v36
	v_fmac_f16_e32 v46, v48, v23
	s_waitcnt lgkmcnt(4)
	v_lshrrev_b32_e32 v23, 16, v25
	v_mul_f16_sdwa v30, v22, v24 dst_sel:DWORD dst_unused:UNUSED_PAD src0_sel:DWORD src1_sel:WORD_1
	v_fmac_f16_e32 v15, v16, v45
	v_fma_f16 v16, v37, v20, -v28
	v_mul_f16_sdwa v28, v46, v24 dst_sel:DWORD dst_unused:UNUSED_PAD src0_sel:DWORD src1_sel:WORD_1
	s_waitcnt lgkmcnt(3)
	v_mul_f16_sdwa v38, v23, v35 dst_sel:DWORD dst_unused:UNUSED_PAD src0_sel:DWORD src1_sel:WORD_1
	v_fmac_f16_e32 v30, v24, v46
	v_mul_f16_e32 v36, v37, v36
	v_mul_f16_sdwa v37, v25, v35 dst_sel:DWORD dst_unused:UNUSED_PAD src0_sel:DWORD src1_sel:WORD_1
	v_fma_f16 v22, v24, v22, -v28
	v_fma_f16 v24, v25, v35, -v38
	v_mul_f16_e32 v25, v55, v30
	v_mul_f16_e32 v28, v2, v30
	v_lshrrev_b32_e32 v30, 10, v31
	v_fmac_f16_e32 v37, v23, v35
	v_fmac_f16_e32 v36, v57, v20
	v_fma_f16 v2, v2, v22, -v25
	v_add_nc_u32_e32 v25, v31, v3
	s_waitcnt lgkmcnt(2)
	v_mul_f16_sdwa v20, v24, v39 dst_sel:DWORD dst_unused:UNUSED_PAD src0_sel:DWORD src1_sel:WORD_1
	v_and_b32_e32 v30, 0xfc, v30
	v_fmac_f16_e32 v28, v55, v22
	v_mul_f16_sdwa v22, v37, v39 dst_sel:DWORD dst_unused:UNUSED_PAD src0_sel:DWORD src1_sel:WORD_1
	v_lshrrev_b32_e32 v35, 4, v25
	s_waitcnt lgkmcnt(1)
	v_lshrrev_b32_e32 v23, 16, v42
	v_fmac_f16_e32 v20, v39, v37
	v_and_b32_e32 v37, 63, v25
	v_add_nc_u32_e32 v30, s0, v30
	v_and_b32_e32 v35, 0xfc, v35
	v_fma_f16 v22, v39, v24, -v22
	s_waitcnt lgkmcnt(0)
	v_mul_f16_sdwa v24, v23, v40 dst_sel:DWORD dst_unused:UNUSED_PAD src0_sel:DWORD src1_sel:WORD_1
	v_lshl_add_u32 v37, v37, 2, 0
	v_lshrrev_b32_e32 v39, 10, v25
	v_add_nc_u32_e32 v25, v25, v3
	v_add_nc_u32_e32 v35, s0, v35
	ds_read_b32 v30, v30 offset:512
	ds_read_b32 v37, v37 offset:7488
	v_fma_f16 v24, v42, v40, -v24
	v_mul_f16_sdwa v38, v42, v40 dst_sel:DWORD dst_unused:UNUSED_PAD src0_sel:DWORD src1_sel:WORD_1
	v_lshrrev_b32_e32 v42, 4, v25
	ds_read_b32 v35, v35 offset:256
	v_lshrrev_b32_e32 v44, 10, v25
	v_add_nc_u32_e32 v45, v25, v3
	v_and_b32_e32 v39, 0xfc, v39
	v_and_b32_e32 v25, 63, v25
	;; [unrolled: 1-line block ×5, first 2 shown]
	v_add_nc_u32_e32 v39, s0, v39
	v_lshl_add_u32 v25, v25, 2, 0
	v_add_nc_u32_e32 v42, s0, v42
	v_add_nc_u32_e32 v44, s0, v44
	v_lshl_add_u32 v46, v46, 2, 0
	ds_read_b32 v39, v39 offset:512
	ds_read_b32 v25, v25 offset:7488
	;; [unrolled: 1-line block ×5, first 2 shown]
	v_mul_f16_e32 v31, v33, v20
	v_fmac_f16_e32 v38, v23, v40
	s_waitcnt lgkmcnt(7)
	v_mul_f16_sdwa v23, v24, v30 dst_sel:DWORD dst_unused:UNUSED_PAD src0_sel:DWORD src1_sel:WORD_1
	s_waitcnt lgkmcnt(6)
	v_lshrrev_b32_e32 v47, 16, v37
	v_lshlrev_b32_e32 v29, 16, v29
	v_fma_f16 v31, v5, v22, -v31
	s_waitcnt lgkmcnt(5)
	v_mul_f16_sdwa v40, v37, v35 dst_sel:DWORD dst_unused:UNUSED_PAD src0_sel:DWORD src1_sel:WORD_1
	v_mul_f16_e32 v5, v5, v20
	v_mul_f16_sdwa v48, v38, v30 dst_sel:DWORD dst_unused:UNUSED_PAD src0_sel:DWORD src1_sel:WORD_1
	v_fmac_f16_e32 v23, v30, v38
	v_mul_f16_sdwa v20, v47, v35 dst_sel:DWORD dst_unused:UNUSED_PAD src0_sel:DWORD src1_sel:WORD_1
	v_fmac_f16_e32 v40, v47, v35
	v_fmac_f16_e32 v5, v33, v22
	v_fma_f16 v22, v30, v24, -v48
	v_mul_f16_e32 v24, v14, v23
	v_fma_f16 v20, v37, v35, -v20
	v_mul_f16_e32 v23, v17, v23
	s_waitcnt lgkmcnt(4)
	v_mul_f16_sdwa v33, v40, v39 dst_sel:DWORD dst_unused:UNUSED_PAD src0_sel:DWORD src1_sel:WORD_1
	s_waitcnt lgkmcnt(3)
	v_lshrrev_b32_e32 v35, 16, v25
	v_fma_f16 v17, v17, v22, -v24
	v_lshrrev_b32_e32 v24, 4, v45
	v_mul_f16_sdwa v30, v20, v39 dst_sel:DWORD dst_unused:UNUSED_PAD src0_sel:DWORD src1_sel:WORD_1
	v_fmac_f16_e32 v23, v14, v22
	v_fma_f16 v14, v39, v20, -v33
	s_waitcnt lgkmcnt(2)
	v_mul_f16_sdwa v20, v35, v42 dst_sel:DWORD dst_unused:UNUSED_PAD src0_sel:DWORD src1_sel:WORD_1
	v_and_b32_e32 v24, 0xfc, v24
	v_mul_f16_sdwa v22, v25, v42 dst_sel:DWORD dst_unused:UNUSED_PAD src0_sel:DWORD src1_sel:WORD_1
	v_lshrrev_b32_e32 v37, 10, v45
	v_fmac_f16_e32 v30, v39, v40
	v_fma_f16 v20, v25, v42, -v20
	v_add_nc_u32_e32 v25, v45, v3
	v_add_nc_u32_e32 v24, s0, v24
	v_fmac_f16_e32 v22, v35, v42
	v_and_b32_e32 v35, 0xfc, v37
	s_waitcnt lgkmcnt(1)
	v_mul_f16_sdwa v37, v20, v44 dst_sel:DWORD dst_unused:UNUSED_PAD src0_sel:DWORD src1_sel:WORD_1
	v_lshrrev_b32_e32 v39, 4, v25
	v_and_b32_e32 v40, 63, v25
	v_lshrrev_b32_e32 v42, 10, v25
	v_add_nc_u32_e32 v3, v25, v3
	ds_read_b32 v24, v24 offset:256
	v_and_b32_e32 v25, 0xfc, v39
	v_lshl_add_u32 v39, v40, 2, 0
	v_and_b32_e32 v40, 0xfc, v42
	v_lshrrev_b32_e32 v42, 4, v3
	v_lshrrev_b32_e32 v45, 10, v3
	v_add_nc_u32_e32 v35, s0, v35
	v_and_b32_e32 v3, 63, v3
	v_add_nc_u32_e32 v25, s0, v25
	v_and_b32_e32 v42, 0xfc, v42
	v_and_b32_e32 v45, 0xfc, v45
	ds_read_b32 v35, v35 offset:512
	ds_read_b32 v39, v39 offset:7488
	v_add_nc_u32_e32 v40, s0, v40
	v_lshl_add_u32 v3, v3, 2, 0
	v_add_nc_u32_e32 v42, s0, v42
	v_add_nc_u32_e32 v45, s0, v45
	ds_read_b32 v25, v25 offset:256
	ds_read_b32 v40, v40 offset:512
	;; [unrolled: 1-line block ×5, first 2 shown]
	s_waitcnt lgkmcnt(8)
	v_lshrrev_b32_e32 v38, 16, v46
	v_mul_f16_sdwa v48, v22, v44 dst_sel:DWORD dst_unused:UNUSED_PAD src0_sel:DWORD src1_sel:WORD_1
	v_fmac_f16_e32 v37, v44, v22
	v_mul_f16_e32 v33, v13, v30
	s_waitcnt lgkmcnt(7)
	v_mul_f16_sdwa v22, v46, v24 dst_sel:DWORD dst_unused:UNUSED_PAD src0_sel:DWORD src1_sel:WORD_1
	v_mul_f16_sdwa v47, v38, v24 dst_sel:DWORD dst_unused:UNUSED_PAD src0_sel:DWORD src1_sel:WORD_1
	v_mul_f16_e32 v30, v59, v30
	v_fma_f16 v20, v44, v20, -v48
	v_mul_f16_e32 v44, v26, v37
	v_fma_f16 v33, v59, v14, -v33
	v_fma_f16 v46, v46, v24, -v47
	v_fmac_f16_e32 v22, v38, v24
	v_fmac_f16_e32 v30, v13, v14
	v_fma_f16 v14, v11, v20, -v44
	s_waitcnt lgkmcnt(5)
	v_lshrrev_b32_e32 v13, 16, v39
	v_mul_f16_sdwa v24, v46, v35 dst_sel:DWORD dst_unused:UNUSED_PAD src0_sel:DWORD src1_sel:WORD_1
	v_mul_f16_e32 v11, v11, v37
	s_waitcnt lgkmcnt(4)
	v_mul_f16_sdwa v37, v39, v25 dst_sel:DWORD dst_unused:UNUSED_PAD src0_sel:DWORD src1_sel:WORD_1
	v_mul_f16_sdwa v38, v22, v35 dst_sel:DWORD dst_unused:UNUSED_PAD src0_sel:DWORD src1_sel:WORD_1
	s_waitcnt lgkmcnt(2)
	v_lshrrev_b32_e32 v44, 16, v3
	v_fmac_f16_e32 v24, v35, v22
	v_mul_f16_sdwa v22, v13, v25 dst_sel:DWORD dst_unused:UNUSED_PAD src0_sel:DWORD src1_sel:WORD_1
	v_fmac_f16_e32 v37, v13, v25
	v_fma_f16 v35, v35, v46, -v38
	v_fmac_f16_e32 v11, v26, v20
	v_mul_f16_e32 v38, v21, v24
	v_fma_f16 v22, v39, v25, -v22
	s_waitcnt lgkmcnt(1)
	v_mul_f16_sdwa v20, v44, v42 dst_sel:DWORD dst_unused:UNUSED_PAD src0_sel:DWORD src1_sel:WORD_1
	v_mul_f16_sdwa v26, v37, v40 dst_sel:DWORD dst_unused:UNUSED_PAD src0_sel:DWORD src1_sel:WORD_1
	v_cmp_lt_u32_e64 s0, 0x74, v0
	v_fma_f16 v13, v7, v35, -v38
	v_mul_f16_sdwa v25, v22, v40 dst_sel:DWORD dst_unused:UNUSED_PAD src0_sel:DWORD src1_sel:WORD_1
	v_mul_f16_sdwa v38, v3, v42 dst_sel:DWORD dst_unused:UNUSED_PAD src0_sel:DWORD src1_sel:WORD_1
	v_fma_f16 v3, v3, v42, -v20
	v_fma_f16 v20, v40, v22, -v26
	v_mul_hi_u32 v22, 0x2302303, v0
	v_mul_f16_e32 v7, v7, v24
	v_fmac_f16_e32 v25, v40, v37
	v_fmac_f16_e32 v38, v44, v42
	v_cndmask_b32_e64 v0, 0, 1, s1
	s_waitcnt lgkmcnt(0)
	v_mul_f16_sdwa v24, v3, v45 dst_sel:DWORD dst_unused:UNUSED_PAD src0_sel:DWORD src1_sel:WORD_1
	v_fmac_f16_e32 v7, v21, v35
	v_mul_f16_e32 v26, v41, v25
	v_mul_u32_u24_e32 v22, 0xd0, v22
	v_mul_f16_e32 v21, v32, v25
	v_mul_f16_sdwa v25, v38, v45 dst_sel:DWORD dst_unused:UNUSED_PAD src0_sel:DWORD src1_sel:WORD_1
	v_fmac_f16_e32 v24, v45, v38
	v_fma_f16 v26, v32, v20, -v26
	v_or_b32_e32 v19, v22, v19
	v_cndmask_b32_e64 v22, 0, 1, vcc_lo
	s_or_b32 vcc_lo, s0, s3
	v_fma_f16 v3, v45, v3, -v25
	v_fmac_f16_e32 v21, v41, v20
	v_mul_lo_u32 v25, s20, v19
	v_cndmask_b32_e32 v0, v22, v0, vcc_lo
	v_mul_f16_e32 v20, v34, v24
	v_mul_f16_e32 v24, v56, v24
	v_lshlrev_b32_e32 v32, 16, v52
	v_or_b32_sdwa v6, v29, v6 dst_sel:DWORD dst_unused:UNUSED_PAD src0_sel:DWORD src1_sel:WORD_0
	v_and_b32_e32 v0, 1, v0
	v_fma_f16 v20, v56, v3, -v20
	v_add_lshl_u32 v22, v18, v25, 2
	v_fmac_f16_e32 v24, v34, v3
	v_add_nc_u32_e32 v3, 13, v19
	v_cmp_eq_u32_e32 vcc_lo, 1, v0
	v_add_nc_u32_e32 v25, 26, v19
	v_or_b32_sdwa v1, v32, v1 dst_sel:DWORD dst_unused:UNUSED_PAD src0_sel:DWORD src1_sel:WORD_0
	v_lshlrev_b32_e32 v32, 16, v49
	v_mul_lo_u32 v3, s20, v3
	v_cndmask_b32_e32 v0, -1, v22, vcc_lo
	v_add_nc_u32_e32 v22, 39, v19
	v_mul_lo_u32 v25, s20, v25
	v_lshlrev_b32_e32 v27, 16, v27
	v_add_nc_u32_e32 v29, 52, v19
	v_or_b32_sdwa v8, v32, v8 dst_sel:DWORD dst_unused:UNUSED_PAD src0_sel:DWORD src1_sel:WORD_0
	v_mul_lo_u32 v22, s20, v22
	v_add_lshl_u32 v3, v18, v3, 2
	v_add_nc_u32_e32 v32, 0x41, v19
	s_lshl_b32 s0, s2, 2
	v_add_lshl_u32 v25, v18, v25, 2
	v_or_b32_sdwa v9, v27, v9 dst_sel:DWORD dst_unused:UNUSED_PAD src0_sel:DWORD src1_sel:WORD_0
	v_cndmask_b32_e32 v3, -1, v3, vcc_lo
	v_mul_lo_u32 v27, s20, v29
	v_add_lshl_u32 v22, v18, v22, 2
	buffer_store_dword v1, v0, s[4:7], s0 offen
	v_add_nc_u32_e32 v1, 0x4e, v19
	v_cndmask_b32_e32 v25, -1, v25, vcc_lo
	v_mul_lo_u32 v0, s20, v32
	v_cndmask_b32_e32 v22, -1, v22, vcc_lo
	buffer_store_dword v8, v3, s[4:7], s0 offen
	buffer_store_dword v6, v25, s[4:7], s0 offen
	;; [unrolled: 1-line block ×3, first 2 shown]
	v_mul_lo_u32 v1, s20, v1
	v_add_nc_u32_e32 v9, 0x5b, v19
	v_lshlrev_b32_e32 v3, 16, v50
	v_add_lshl_u32 v6, v18, v27, 2
	v_lshlrev_b32_e32 v8, 16, v43
	v_add_lshl_u32 v0, v18, v0, 2
	v_mul_lo_u32 v9, s20, v9
	v_or_b32_sdwa v3, v3, v10 dst_sel:DWORD dst_unused:UNUSED_PAD src0_sel:DWORD src1_sel:WORD_0
	v_cndmask_b32_e32 v6, -1, v6, vcc_lo
	v_or_b32_sdwa v4, v8, v4 dst_sel:DWORD dst_unused:UNUSED_PAD src0_sel:DWORD src1_sel:WORD_0
	v_lshlrev_b32_e32 v8, 16, v15
	v_add_lshl_u32 v1, v18, v1, 2
	v_cndmask_b32_e32 v0, -1, v0, vcc_lo
	buffer_store_dword v3, v6, s[4:7], s0 offen
	buffer_store_dword v4, v0, s[4:7], s0 offen
	v_or_b32_sdwa v3, v8, v12 dst_sel:DWORD dst_unused:UNUSED_PAD src0_sel:DWORD src1_sel:WORD_0
	v_cndmask_b32_e32 v1, -1, v1, vcc_lo
	v_lshlrev_b32_e32 v4, 16, v36
	v_add_lshl_u32 v6, v18, v9, 2
	v_add_nc_u32_e32 v8, 0x75, v19
	v_add_nc_u32_e32 v0, 0x68, v19
	buffer_store_dword v3, v1, s[4:7], s0 offen
	v_or_b32_sdwa v1, v4, v16 dst_sel:DWORD dst_unused:UNUSED_PAD src0_sel:DWORD src1_sel:WORD_0
	v_cndmask_b32_e32 v3, -1, v6, vcc_lo
	v_add_nc_u32_e32 v4, 0x82, v19
	v_mul_lo_u32 v6, s20, v8
	v_mul_lo_u32 v0, s20, v0
	v_lshlrev_b32_e32 v8, 16, v28
	buffer_store_dword v1, v3, s[4:7], s0 offen
	v_mul_lo_u32 v1, s20, v4
	v_lshlrev_b32_e32 v3, 16, v5
	v_lshlrev_b32_e32 v5, 16, v23
	v_or_b32_sdwa v2, v8, v2 dst_sel:DWORD dst_unused:UNUSED_PAD src0_sel:DWORD src1_sel:WORD_0
	v_add_lshl_u32 v4, v18, v6, 2
	v_add_nc_u32_e32 v6, 0x8f, v19
	v_add_lshl_u32 v0, v18, v0, 2
	v_or_b32_sdwa v3, v3, v31 dst_sel:DWORD dst_unused:UNUSED_PAD src0_sel:DWORD src1_sel:WORD_0
	v_add_lshl_u32 v1, v18, v1, 2
	v_cndmask_b32_e32 v4, -1, v4, vcc_lo
	v_mul_lo_u32 v6, s20, v6
	v_cndmask_b32_e32 v0, -1, v0, vcc_lo
	v_or_b32_sdwa v5, v5, v17 dst_sel:DWORD dst_unused:UNUSED_PAD src0_sel:DWORD src1_sel:WORD_0
	v_cndmask_b32_e32 v1, -1, v1, vcc_lo
	v_add_nc_u32_e32 v8, 0x9c, v19
	v_lshlrev_b32_e32 v9, 16, v30
	buffer_store_dword v2, v0, s[4:7], s0 offen
	buffer_store_dword v3, v4, s[4:7], s0 offen
	buffer_store_dword v5, v1, s[4:7], s0 offen
	v_add_nc_u32_e32 v3, 0xa9, v19
	v_add_nc_u32_e32 v5, 0xb6, v19
	v_add_lshl_u32 v2, v18, v6, 2
	v_add_nc_u32_e32 v6, 0xc3, v19
	v_mul_lo_u32 v0, s20, v8
	v_mul_lo_u32 v3, s20, v3
	v_mul_lo_u32 v5, s20, v5
	v_lshlrev_b32_e32 v4, 16, v11
	v_mul_lo_u32 v6, s20, v6
	v_lshlrev_b32_e32 v7, 16, v7
	v_lshlrev_b32_e32 v8, 16, v21
	v_or_b32_sdwa v1, v9, v33 dst_sel:DWORD dst_unused:UNUSED_PAD src0_sel:DWORD src1_sel:WORD_0
	v_add_lshl_u32 v0, v18, v0, 2
	v_add_lshl_u32 v3, v18, v3, 2
	;; [unrolled: 1-line block ×3, first 2 shown]
	v_lshlrev_b32_e32 v9, 16, v24
	v_add_lshl_u32 v6, v18, v6, 2
	v_cndmask_b32_e32 v2, -1, v2, vcc_lo
	v_or_b32_sdwa v4, v4, v14 dst_sel:DWORD dst_unused:UNUSED_PAD src0_sel:DWORD src1_sel:WORD_0
	v_cndmask_b32_e32 v0, -1, v0, vcc_lo
	v_or_b32_sdwa v7, v7, v13 dst_sel:DWORD dst_unused:UNUSED_PAD src0_sel:DWORD src1_sel:WORD_0
	;; [unrolled: 2-line block ×4, first 2 shown]
	v_cndmask_b32_e32 v6, -1, v6, vcc_lo
	buffer_store_dword v1, v2, s[4:7], s0 offen
	buffer_store_dword v4, v0, s[4:7], s0 offen
	;; [unrolled: 1-line block ×5, first 2 shown]
	s_endpgm
	.section	.rodata,"a",@progbits
	.p2align	6, 0x0
	.amdhsa_kernel fft_rtc_fwd_len208_factors_13_16_wgs_144_tpt_16_half_op_CI_CI_sbcc_twdbase6_3step_dirReg_intrinsicReadWrite
		.amdhsa_group_segment_fixed_size 0
		.amdhsa_private_segment_fixed_size 0
		.amdhsa_kernarg_size 112
		.amdhsa_user_sgpr_count 6
		.amdhsa_user_sgpr_private_segment_buffer 1
		.amdhsa_user_sgpr_dispatch_ptr 0
		.amdhsa_user_sgpr_queue_ptr 0
		.amdhsa_user_sgpr_kernarg_segment_ptr 1
		.amdhsa_user_sgpr_dispatch_id 0
		.amdhsa_user_sgpr_flat_scratch_init 0
		.amdhsa_user_sgpr_private_segment_size 0
		.amdhsa_wavefront_size32 1
		.amdhsa_uses_dynamic_stack 0
		.amdhsa_system_sgpr_private_segment_wavefront_offset 0
		.amdhsa_system_sgpr_workgroup_id_x 1
		.amdhsa_system_sgpr_workgroup_id_y 0
		.amdhsa_system_sgpr_workgroup_id_z 0
		.amdhsa_system_sgpr_workgroup_info 0
		.amdhsa_system_vgpr_workitem_id 0
		.amdhsa_next_free_vgpr 60
		.amdhsa_next_free_sgpr 53
		.amdhsa_reserve_vcc 1
		.amdhsa_reserve_flat_scratch 0
		.amdhsa_float_round_mode_32 0
		.amdhsa_float_round_mode_16_64 0
		.amdhsa_float_denorm_mode_32 3
		.amdhsa_float_denorm_mode_16_64 3
		.amdhsa_dx10_clamp 1
		.amdhsa_ieee_mode 1
		.amdhsa_fp16_overflow 0
		.amdhsa_workgroup_processor_mode 1
		.amdhsa_memory_ordered 1
		.amdhsa_forward_progress 0
		.amdhsa_shared_vgpr_count 0
		.amdhsa_exception_fp_ieee_invalid_op 0
		.amdhsa_exception_fp_denorm_src 0
		.amdhsa_exception_fp_ieee_div_zero 0
		.amdhsa_exception_fp_ieee_overflow 0
		.amdhsa_exception_fp_ieee_underflow 0
		.amdhsa_exception_fp_ieee_inexact 0
		.amdhsa_exception_int_div_zero 0
	.end_amdhsa_kernel
	.text
.Lfunc_end0:
	.size	fft_rtc_fwd_len208_factors_13_16_wgs_144_tpt_16_half_op_CI_CI_sbcc_twdbase6_3step_dirReg_intrinsicReadWrite, .Lfunc_end0-fft_rtc_fwd_len208_factors_13_16_wgs_144_tpt_16_half_op_CI_CI_sbcc_twdbase6_3step_dirReg_intrinsicReadWrite
                                        ; -- End function
	.section	.AMDGPU.csdata,"",@progbits
; Kernel info:
; codeLenInByte = 10764
; NumSgprs: 55
; NumVgprs: 60
; ScratchSize: 0
; MemoryBound: 0
; FloatMode: 240
; IeeeMode: 1
; LDSByteSize: 0 bytes/workgroup (compile time only)
; SGPRBlocks: 6
; VGPRBlocks: 7
; NumSGPRsForWavesPerEU: 55
; NumVGPRsForWavesPerEU: 60
; Occupancy: 15
; WaveLimiterHint : 0
; COMPUTE_PGM_RSRC2:SCRATCH_EN: 0
; COMPUTE_PGM_RSRC2:USER_SGPR: 6
; COMPUTE_PGM_RSRC2:TRAP_HANDLER: 0
; COMPUTE_PGM_RSRC2:TGID_X_EN: 1
; COMPUTE_PGM_RSRC2:TGID_Y_EN: 0
; COMPUTE_PGM_RSRC2:TGID_Z_EN: 0
; COMPUTE_PGM_RSRC2:TIDIG_COMP_CNT: 0
	.text
	.p2alignl 6, 3214868480
	.fill 48, 4, 3214868480
	.type	__hip_cuid_838ddba05a3f87a8,@object ; @__hip_cuid_838ddba05a3f87a8
	.section	.bss,"aw",@nobits
	.globl	__hip_cuid_838ddba05a3f87a8
__hip_cuid_838ddba05a3f87a8:
	.byte	0                               ; 0x0
	.size	__hip_cuid_838ddba05a3f87a8, 1

	.ident	"AMD clang version 19.0.0git (https://github.com/RadeonOpenCompute/llvm-project roc-6.4.0 25133 c7fe45cf4b819c5991fe208aaa96edf142730f1d)"
	.section	".note.GNU-stack","",@progbits
	.addrsig
	.addrsig_sym __hip_cuid_838ddba05a3f87a8
	.amdgpu_metadata
---
amdhsa.kernels:
  - .args:
      - .actual_access:  read_only
        .address_space:  global
        .offset:         0
        .size:           8
        .value_kind:     global_buffer
      - .address_space:  global
        .offset:         8
        .size:           8
        .value_kind:     global_buffer
      - .offset:         16
        .size:           8
        .value_kind:     by_value
      - .actual_access:  read_only
        .address_space:  global
        .offset:         24
        .size:           8
        .value_kind:     global_buffer
      - .actual_access:  read_only
        .address_space:  global
        .offset:         32
        .size:           8
        .value_kind:     global_buffer
      - .actual_access:  read_only
        .address_space:  global
        .offset:         40
        .size:           8
        .value_kind:     global_buffer
      - .offset:         48
        .size:           8
        .value_kind:     by_value
      - .actual_access:  read_only
        .address_space:  global
        .offset:         56
        .size:           8
        .value_kind:     global_buffer
      - .actual_access:  read_only
        .address_space:  global
        .offset:         64
        .size:           8
        .value_kind:     global_buffer
      - .offset:         72
        .size:           4
        .value_kind:     by_value
      - .actual_access:  read_only
        .address_space:  global
        .offset:         80
        .size:           8
        .value_kind:     global_buffer
      - .actual_access:  read_only
        .address_space:  global
        .offset:         88
        .size:           8
        .value_kind:     global_buffer
      - .address_space:  global
        .offset:         96
        .size:           8
        .value_kind:     global_buffer
      - .address_space:  global
        .offset:         104
        .size:           8
        .value_kind:     global_buffer
    .group_segment_fixed_size: 0
    .kernarg_segment_align: 8
    .kernarg_segment_size: 112
    .language:       OpenCL C
    .language_version:
      - 2
      - 0
    .max_flat_workgroup_size: 144
    .name:           fft_rtc_fwd_len208_factors_13_16_wgs_144_tpt_16_half_op_CI_CI_sbcc_twdbase6_3step_dirReg_intrinsicReadWrite
    .private_segment_fixed_size: 0
    .sgpr_count:     55
    .sgpr_spill_count: 0
    .symbol:         fft_rtc_fwd_len208_factors_13_16_wgs_144_tpt_16_half_op_CI_CI_sbcc_twdbase6_3step_dirReg_intrinsicReadWrite.kd
    .uniform_work_group_size: 1
    .uses_dynamic_stack: false
    .vgpr_count:     60
    .vgpr_spill_count: 0
    .wavefront_size: 32
    .workgroup_processor_mode: 1
amdhsa.target:   amdgcn-amd-amdhsa--gfx1030
amdhsa.version:
  - 1
  - 2
...

	.end_amdgpu_metadata
